;; amdgpu-corpus repo=ROCm/rocFFT kind=compiled arch=gfx1201 opt=O3
	.text
	.amdgcn_target "amdgcn-amd-amdhsa--gfx1201"
	.amdhsa_code_object_version 6
	.protected	bluestein_single_fwd_len286_dim1_half_op_CI_CI ; -- Begin function bluestein_single_fwd_len286_dim1_half_op_CI_CI
	.globl	bluestein_single_fwd_len286_dim1_half_op_CI_CI
	.p2align	8
	.type	bluestein_single_fwd_len286_dim1_half_op_CI_CI,@function
bluestein_single_fwd_len286_dim1_half_op_CI_CI: ; @bluestein_single_fwd_len286_dim1_half_op_CI_CI
; %bb.0:
	s_load_b128 s[8:11], s[0:1], 0x28
	v_mul_u32_u24_e32 v1, 0x9d9, v0
	v_mov_b32_e32 v9, 0
	s_mov_b32 s2, exec_lo
	s_delay_alu instid0(VALU_DEP_2) | instskip(NEXT) | instid1(VALU_DEP_1)
	v_lshrrev_b32_e32 v1, 16, v1
	v_lshl_add_u32 v8, ttmp9, 1, v1
	s_wait_kmcnt 0x0
	s_delay_alu instid0(VALU_DEP_1)
	v_cmpx_gt_u64_e64 s[8:9], v[8:9]
	s_cbranch_execz .LBB0_23
; %bb.1:
	v_mul_lo_u16 v2, v1, 26
	s_clause 0x1
	s_load_b64 s[20:21], s[0:1], 0x0
	s_load_b64 s[8:9], s[0:1], 0x38
	v_and_b32_e32 v1, 1, v1
	v_sub_nc_u16 v0, v0, v2
	s_delay_alu instid0(VALU_DEP_2) | instskip(NEXT) | instid1(VALU_DEP_2)
	v_cmp_eq_u32_e32 vcc_lo, 1, v1
	v_and_b32_e32 v28, 0xffff, v0
	v_cndmask_b32_e64 v29, 0, 0x11e, vcc_lo
	v_cmp_gt_u16_e32 vcc_lo, 22, v0
	s_delay_alu instid0(VALU_DEP_3) | instskip(NEXT) | instid1(VALU_DEP_3)
	v_lshlrev_b32_e32 v27, 2, v28
	v_lshlrev_b32_e32 v30, 2, v29
	s_and_saveexec_b32 s3, vcc_lo
	s_cbranch_execz .LBB0_3
; %bb.2:
	s_load_b64 s[4:5], s[0:1], 0x18
	s_wait_kmcnt 0x0
	s_load_b128 s[4:7], s[4:5], 0x0
	s_wait_kmcnt 0x0
	v_mad_co_u64_u32 v[0:1], null, s6, v8, 0
	v_mad_co_u64_u32 v[2:3], null, s4, v28, 0
	s_delay_alu instid0(VALU_DEP_1) | instskip(NEXT) | instid1(VALU_DEP_1)
	v_mad_co_u64_u32 v[4:5], null, s7, v8, v[1:2]
	v_mad_co_u64_u32 v[5:6], null, s5, v28, v[3:4]
	v_mov_b32_e32 v1, v4
	s_mul_u64 s[4:5], s[4:5], 0x58
	s_delay_alu instid0(VALU_DEP_1) | instskip(NEXT) | instid1(VALU_DEP_3)
	v_lshlrev_b64_e32 v[0:1], 2, v[0:1]
	v_mov_b32_e32 v3, v5
	s_clause 0x7
	global_load_b32 v4, v27, s[20:21]
	global_load_b32 v5, v27, s[20:21] offset:88
	global_load_b32 v6, v27, s[20:21] offset:176
	;; [unrolled: 1-line block ×7, first 2 shown]
	v_add_co_u32 v0, s2, s10, v0
	v_lshlrev_b64_e32 v[2:3], 2, v[2:3]
	v_add_co_ci_u32_e64 v1, s2, s11, v1, s2
	s_delay_alu instid0(VALU_DEP_2) | instskip(SKIP_1) | instid1(VALU_DEP_2)
	v_add_co_u32 v0, s2, v0, v2
	s_wait_alu 0xf1ff
	v_add_co_ci_u32_e64 v1, s2, v1, v3, s2
	global_load_b32 v13, v[0:1], off
	s_wait_alu 0xfffe
	v_add_co_u32 v0, s2, v0, s4
	s_wait_alu 0xf1ff
	v_add_co_ci_u32_e64 v1, s2, s5, v1, s2
	s_clause 0x4
	global_load_b32 v14, v27, s[20:21] offset:704
	global_load_b32 v15, v27, s[20:21] offset:792
	;; [unrolled: 1-line block ×5, first 2 shown]
	v_add_co_u32 v2, s2, v0, s4
	s_wait_alu 0xf1ff
	v_add_co_ci_u32_e64 v3, s2, s5, v1, s2
	global_load_b32 v19, v[0:1], off
	v_add_co_u32 v0, s2, v2, s4
	s_wait_alu 0xf1ff
	v_add_co_ci_u32_e64 v1, s2, s5, v3, s2
	s_clause 0x1
	global_load_b32 v20, v[2:3], off
	global_load_b32 v21, v[0:1], off
	v_add_co_u32 v0, s2, v0, s4
	s_wait_alu 0xf1ff
	v_add_co_ci_u32_e64 v1, s2, s5, v1, s2
	s_delay_alu instid0(VALU_DEP_2) | instskip(SKIP_1) | instid1(VALU_DEP_2)
	v_add_co_u32 v2, s2, v0, s4
	s_wait_alu 0xf1ff
	v_add_co_ci_u32_e64 v3, s2, s5, v1, s2
	global_load_b32 v22, v[0:1], off
	v_add_co_u32 v0, s2, v2, s4
	s_wait_alu 0xf1ff
	v_add_co_ci_u32_e64 v1, s2, s5, v3, s2
	global_load_b32 v23, v[2:3], off
	global_load_b32 v24, v[0:1], off
	v_add_co_u32 v0, s2, v0, s4
	s_wait_alu 0xf1ff
	v_add_co_ci_u32_e64 v1, s2, s5, v1, s2
	s_delay_alu instid0(VALU_DEP_2) | instskip(SKIP_1) | instid1(VALU_DEP_2)
	v_add_co_u32 v2, s2, v0, s4
	s_wait_alu 0xf1ff
	v_add_co_ci_u32_e64 v3, s2, s5, v1, s2
	global_load_b32 v25, v[0:1], off
	v_add_co_u32 v0, s2, v2, s4
	s_wait_alu 0xf1ff
	v_add_co_ci_u32_e64 v1, s2, s5, v3, s2
	global_load_b32 v26, v[2:3], off
	;; [unrolled: 4-line block ×5, first 2 shown]
	global_load_b32 v1, v[2:3], off
	v_lshl_add_u32 v2, v28, 2, v30
	v_add_nc_u32_e32 v3, v30, v27
	s_wait_loadcnt 0x19
	v_lshrrev_b32_e32 v33, 16, v4
	s_wait_loadcnt 0x18
	v_lshrrev_b32_e32 v34, 16, v5
	;; [unrolled: 2-line block ×9, first 2 shown]
	v_mul_f16_e32 v45, v33, v13
	s_wait_loadcnt 0x10
	v_lshrrev_b32_e32 v41, 16, v14
	s_wait_loadcnt 0xf
	v_lshrrev_b32_e32 v43, 16, v15
	;; [unrolled: 2-line block ×3, first 2 shown]
	v_mul_f16_e32 v33, v33, v42
	v_fma_f16 v42, v4, v42, -v45
	s_wait_loadcnt 0xd
	v_lshrrev_b32_e32 v46, 16, v17
	s_wait_loadcnt 0xc
	v_lshrrev_b32_e32 v48, 16, v18
	s_wait_loadcnt 0xb
	v_lshrrev_b32_e32 v47, 16, v19
	v_mul_f16_e32 v45, v34, v19
	v_fmac_f16_e32 v33, v4, v13
	s_delay_alu instid0(VALU_DEP_3)
	v_mul_f16_e32 v4, v34, v47
	s_wait_loadcnt 0xa
	v_lshrrev_b32_e32 v13, 16, v20
	v_mul_f16_e32 v34, v35, v20
	v_fma_f16 v45, v5, v47, -v45
	v_pack_b32_f16 v33, v33, v42
	v_fmac_f16_e32 v4, v5, v19
	v_mul_f16_e32 v5, v35, v13
	s_wait_loadcnt 0x9
	v_lshrrev_b32_e32 v19, 16, v21
	v_fma_f16 v13, v6, v13, -v34
	v_mul_f16_e32 v34, v36, v21
	ds_store_b32 v2, v33
	v_pack_b32_f16 v2, v4, v45
	v_fmac_f16_e32 v5, v6, v20
	v_mul_f16_e32 v4, v36, v19
	s_wait_loadcnt 0x8
	v_lshrrev_b32_e32 v6, 16, v22
	v_mul_f16_e32 v20, v37, v22
	v_fma_f16 v19, v7, v19, -v34
	v_pack_b32_f16 v5, v5, v13
	v_fmac_f16_e32 v4, v7, v21
	v_mul_f16_e32 v7, v37, v6
	s_wait_loadcnt 0x7
	v_lshrrev_b32_e32 v13, 16, v23
	v_fma_f16 v6, v9, v6, -v20
	v_mul_f16_e32 v20, v38, v23
	ds_store_2addr_b32 v3, v2, v5 offset0:22 offset1:44
	v_pack_b32_f16 v2, v4, v19
	v_fmac_f16_e32 v7, v9, v22
	v_mul_f16_e32 v4, v38, v13
	s_wait_loadcnt 0x6
	v_lshrrev_b32_e32 v5, 16, v24
	v_fma_f16 v9, v10, v13, -v20
	v_mul_f16_e32 v13, v39, v24
	v_pack_b32_f16 v6, v7, v6
	v_fmac_f16_e32 v4, v10, v23
	v_mul_f16_e32 v7, v39, v5
	s_wait_loadcnt 0x5
	v_lshrrev_b32_e32 v10, 16, v25
	v_mul_f16_e32 v19, v40, v25
	v_fma_f16 v5, v11, v5, -v13
	v_pack_b32_f16 v4, v4, v9
	v_fmac_f16_e32 v7, v11, v24
	v_mul_f16_e32 v9, v40, v10
	s_wait_loadcnt 0x4
	v_lshrrev_b32_e32 v11, 16, v26
	v_fma_f16 v10, v12, v10, -v19
	v_mul_f16_e32 v13, v41, v26
	v_pack_b32_f16 v5, v7, v5
	v_fmac_f16_e32 v9, v12, v25
	s_wait_loadcnt 0x3
	v_lshrrev_b32_e32 v7, 16, v31
	v_mul_f16_e32 v12, v41, v11
	v_fma_f16 v11, v14, v11, -v13
	v_mul_f16_e32 v13, v43, v31
	v_pack_b32_f16 v9, v9, v10
	v_mul_f16_e32 v10, v43, v7
	v_fmac_f16_e32 v12, v14, v26
	s_wait_loadcnt 0x2
	v_lshrrev_b32_e32 v14, 16, v32
	v_fma_f16 v7, v15, v7, -v13
	v_mul_f16_e32 v13, v44, v32
	v_fmac_f16_e32 v10, v15, v31
	s_wait_loadcnt 0x1
	v_lshrrev_b32_e32 v15, 16, v0
	s_wait_loadcnt 0x0
	v_lshrrev_b32_e32 v20, 16, v1
	v_mul_f16_e32 v19, v44, v14
	v_fma_f16 v13, v16, v14, -v13
	v_mul_f16_e32 v14, v46, v0
	v_mul_f16_e32 v21, v46, v15
	v_mul_f16_e32 v22, v48, v1
	v_mul_f16_e32 v23, v48, v20
	v_fmac_f16_e32 v19, v16, v32
	v_fma_f16 v14, v17, v15, -v14
	v_fmac_f16_e32 v21, v17, v0
	v_fma_f16 v0, v18, v20, -v22
	v_fmac_f16_e32 v23, v18, v1
	v_pack_b32_f16 v1, v12, v11
	v_add_nc_u32_e32 v12, 0x200, v3
	v_pack_b32_f16 v7, v10, v7
	v_pack_b32_f16 v10, v19, v13
	;; [unrolled: 1-line block ×4, first 2 shown]
	ds_store_2addr_b32 v3, v2, v6 offset0:66 offset1:88
	ds_store_2addr_b32 v3, v4, v5 offset0:110 offset1:132
	;; [unrolled: 1-line block ×5, first 2 shown]
.LBB0_3:
	s_or_b32 exec_lo, exec_lo, s3
	s_clause 0x1
	s_load_b64 s[4:5], s[0:1], 0x20
	s_load_b64 s[2:3], s[0:1], 0x8
	v_mov_b32_e32 v6, 0
	global_wb scope:SCOPE_SE
	s_wait_dscnt 0x0
	s_wait_kmcnt 0x0
	s_barrier_signal -1
	s_barrier_wait -1
	global_inv scope:SCOPE_SE
                                        ; implicit-def: $vgpr11
                                        ; implicit-def: $vgpr1
                                        ; implicit-def: $vgpr3
                                        ; implicit-def: $vgpr5
                                        ; implicit-def: $vgpr10
                                        ; implicit-def: $vgpr14
	s_and_saveexec_b32 s0, vcc_lo
	s_cbranch_execz .LBB0_5
; %bb.4:
	v_lshl_add_u32 v11, v29, 2, v27
	ds_load_2addr_b32 v[6:7], v11 offset1:22
	ds_load_2addr_b32 v[13:14], v11 offset0:44 offset1:66
	ds_load_2addr_b32 v[9:10], v11 offset0:88 offset1:110
	;; [unrolled: 1-line block ×5, first 2 shown]
	ds_load_b32 v11, v11 offset:1056
.LBB0_5:
	s_wait_alu 0xfffe
	s_or_b32 exec_lo, exec_lo, s0
	s_wait_dscnt 0x0
	v_pk_add_f16 v15, v7, v11 neg_lo:[0,1] neg_hi:[0,1]
	v_pk_add_f16 v16, v13, v1 neg_lo:[0,1] neg_hi:[0,1]
	v_pk_add_f16 v18, v11, v7
	v_pk_add_f16 v19, v1, v13
	v_pk_add_f16 v17, v14, v0 neg_lo:[0,1] neg_hi:[0,1]
	v_lshrrev_b32_e32 v66, 16, v15
	v_lshrrev_b32_e32 v68, 16, v16
	v_pk_mul_f16 v12, 0x3b15388b, v18
	v_lshrrev_b32_e32 v60, 16, v18
	v_lshrrev_b32_e32 v67, 16, v17
	v_mul_f16_e32 v38, 0xb770, v66
	v_mul_f16_e32 v36, 0xba95, v68
	;; [unrolled: 1-line block ×3, first 2 shown]
	v_lshrrev_b32_e32 v39, 16, v6
	v_mul_f16_e32 v37, 0xbbf1, v67
	v_fmamk_f16 v20, v18, 0x3b15, v38
	v_fmamk_f16 v21, v19, 0x388b, v36
	v_lshrrev_b32_e32 v59, 16, v19
	v_pk_fma_f16 v25, 0xba95b770, v15, v12 op_sel:[0,0,1] op_sel_hi:[1,1,0] neg_lo:[0,1,0] neg_hi:[0,1,0]
	v_pk_fma_f16 v26, 0xba95b770, v15, v12 op_sel:[0,0,1] op_sel_hi:[1,1,0]
	v_add_f16_e32 v22, v20, v6
	v_pk_add_f16 v20, v0, v14
	v_fma_f16 v12, v60, 0x388b, -v49
	v_mul_f16_e32 v50, 0xbb7b, v16
	v_pk_mul_f16 v23, 0x388bb5ac, v19
	v_add_f16_e32 v22, v21, v22
	v_pk_add_f16 v21, v9, v3 neg_lo:[0,1] neg_hi:[0,1]
	v_fmamk_f16 v31, v20, 0x2fb7, v37
	v_add_f16_e32 v12, v12, v39
	v_fma_f16 v24, v59, 0xb5ac, -v50
	v_pk_fma_f16 v35, 0xbb7bba95, v16, v23 op_sel:[0,0,1] op_sel_hi:[1,1,0] neg_lo:[0,1,0] neg_hi:[0,1,0]
	v_lshrrev_b32_e32 v69, 16, v21
	v_pk_fma_f16 v40, 0xbb7bba95, v16, v23 op_sel:[0,0,1] op_sel_hi:[1,1,0]
	v_add_f16_e32 v31, v31, v22
	v_lshrrev_b32_e32 v62, 16, v20
	v_mul_f16_e32 v52, 0xb3a8, v17
	v_pk_add_f16 v23, v3, v9
	v_pk_add_f16 v22, v10, v2 neg_lo:[0,1] neg_hi:[0,1]
	v_mul_f16_e32 v44, 0xbb7b, v69
	v_add_f16_e32 v12, v24, v12
	v_pk_mul_f16 v24, 0x2fb7bbc4, v20
	v_fma_f16 v32, v62, 0xbbc4, -v52
	v_lshrrev_b32_e32 v70, 16, v22
	v_fmamk_f16 v33, v23, 0xb5ac, v44
	v_lshrrev_b32_e32 v63, 16, v23
	v_mul_f16_e32 v51, 0x394e, v21
	v_pk_fma_f16 v42, 0xb3a8bbf1, v17, v24 op_sel:[0,0,1] op_sel_hi:[1,1,0] neg_lo:[0,1,0] neg_hi:[0,1,0]
	v_pk_fma_f16 v43, 0xb3a8bbf1, v17, v24 op_sel:[0,0,1] op_sel_hi:[1,1,0]
	v_pk_add_f16 v24, v2, v10
	v_mul_f16_e32 v45, 0xb94e, v70
	v_add_f16_e32 v12, v32, v12
	v_add_f16_e32 v31, v33, v31
	v_fma_f16 v33, v63, 0xb9fd, -v51
	v_pk_mul_f16 v32, 0xb5acb9fd, v23
	v_fmamk_f16 v34, v24, 0xb9fd, v45
	v_pk_mul_f16 v41, 0xb9fd2fb7, v24
	v_lshrrev_b32_e32 v64, 16, v24
	v_add_f16_e32 v12, v33, v12
	v_lshrrev_b32_e32 v33, 16, v26
	v_pk_fma_f16 v46, 0x394ebb7b, v21, v32 op_sel:[0,0,1] op_sel_hi:[1,1,0] neg_lo:[0,1,0] neg_hi:[0,1,0]
	v_pk_fma_f16 v47, 0x394ebb7b, v21, v32 op_sel:[0,0,1] op_sel_hi:[1,1,0]
	v_add_f16_e32 v32, v34, v31
	v_mul_f16_e32 v57, 0x3bf1, v22
	v_add_f16_e32 v34, v25, v39
	v_add_f16_e32 v33, v33, v6
	v_lshrrev_b32_e32 v54, 16, v40
	v_pk_fma_f16 v48, 0x3bf1b94e, v22, v41 op_sel:[0,0,1] op_sel_hi:[1,1,0] neg_lo:[0,1,0] neg_hi:[0,1,0]
	v_pk_add_f16 v31, v4, v5 neg_lo:[0,1] neg_hi:[0,1]
	v_pk_fma_f16 v53, 0x3bf1b94e, v22, v41 op_sel:[0,0,1] op_sel_hi:[1,1,0]
	v_fma_f16 v55, v64, 0x2fb7, -v57
	v_add_f16_e32 v34, v35, v34
	v_add_f16_e32 v33, v54, v33
	v_lshrrev_b32_e32 v56, 16, v43
	v_pk_add_f16 v41, v5, v4
	v_lshrrev_b32_e32 v71, 16, v31
	v_add_f16_e32 v55, v55, v12
	v_add_f16_e32 v12, v42, v34
	;; [unrolled: 1-line block ×3, first 2 shown]
	v_lshrrev_b32_e32 v34, 16, v47
	v_pk_mul_f16 v58, 0xbbc43b15, v41
	v_mul_f16_e32 v54, 0xb3a8, v71
	v_add_f16_e32 v12, v46, v12
	v_lshrrev_b32_e32 v65, 16, v41
	v_add_f16_e32 v33, v34, v33
	v_lshrrev_b32_e32 v34, 16, v53
	v_pk_fma_f16 v56, 0x3770b3a8, v31, v58 op_sel:[0,0,1] op_sel_hi:[1,1,0]
	v_mul_f16_e32 v61, 0x3770, v31
	v_fmamk_f16 v72, v41, 0xbbc4, v54
	v_pk_fma_f16 v58, 0x3770b3a8, v31, v58 op_sel:[0,0,1] op_sel_hi:[1,1,0] neg_lo:[0,1,0] neg_hi:[0,1,0]
	v_add_f16_e32 v12, v48, v12
	v_add_f16_e32 v73, v34, v33
	v_lshrrev_b32_e32 v74, 16, v56
	v_fma_f16 v75, v65, 0x3b15, -v61
	v_add_f16_e32 v33, v72, v32
	v_add_f16_e32 v34, v58, v12
	v_mul_lo_u16 v32, v28, 13
	v_add_f16_e32 v12, v74, v73
	v_add_f16_e32 v55, v75, v55
	global_wb scope:SCOPE_SE
	s_barrier_signal -1
	s_barrier_wait -1
	global_inv scope:SCOPE_SE
	s_and_saveexec_b32 s0, vcc_lo
	s_cbranch_execz .LBB0_7
; %bb.6:
	v_mul_f16_e32 v72, 0x2fb7, v60
	v_mul_f16_e32 v73, 0xbbc4, v59
	v_mul_f16_e32 v74, 0xb5ac, v62
	v_mul_f16_e32 v75, 0x3b15, v63
	v_mul_f16_e32 v79, 0xbbf1, v66
	v_fmamk_f16 v77, v15, 0x3bf1, v72
	v_fmamk_f16 v81, v16, 0x33a8, v73
	;; [unrolled: 1-line block ×3, first 2 shown]
	v_mul_f16_e32 v76, 0x388b, v64
	v_mul_f16_e32 v80, 0xb3a8, v68
	v_add_f16_e32 v77, v77, v39
	v_mul_f16_e32 v84, 0xb5ac, v60
	v_fmamk_f16 v86, v18, 0x2fb7, v79
	v_fmamk_f16 v87, v21, 0xb770, v75
	v_mul_f16_e32 v82, 0x3b7b, v67
	v_add_f16_e32 v77, v81, v77
	v_mul_f16_e32 v81, 0xb9fd, v59
	v_fmamk_f16 v88, v22, 0x3a95, v76
	v_add_f16_e32 v86, v86, v6
	v_fmamk_f16 v90, v15, 0x3b7b, v84
	v_add_f16_e32 v77, v85, v77
	v_fmamk_f16 v85, v19, 0xbbc4, v80
	v_mul_f16_e32 v78, 0xb9fd, v65
	v_mul_f16_e32 v83, 0x3770, v69
	v_add_f16_e32 v90, v90, v39
	v_add_f16_e32 v77, v87, v77
	v_fmamk_f16 v87, v20, 0xb5ac, v82
	v_add_f16_e32 v85, v85, v86
	v_fmamk_f16 v86, v16, 0xb94e, v81
	v_fmamk_f16 v89, v31, 0x394e, v78
	v_add_f16_e32 v77, v88, v77
	v_mul_f16_e32 v88, 0x3b15, v62
	v_add_f16_e32 v85, v87, v85
	v_fmamk_f16 v87, v23, 0x3b15, v83
	v_mul_f16_e32 v91, 0xba95, v70
	v_add_f16_e32 v86, v86, v90
	v_fmamk_f16 v90, v17, 0xb770, v88
	v_mul_f16_e32 v92, 0x2fb7, v63
	v_mul_f16_e32 v94, 0xbb7b, v66
	v_add_f16_e32 v85, v87, v85
	v_fmamk_f16 v87, v24, 0x388b, v91
	v_mul_f16_e32 v93, 0xb94e, v71
	v_add_f16_e32 v86, v90, v86
	v_fmamk_f16 v90, v21, 0x3bf1, v92
	v_add_f16_e32 v77, v89, v77
	v_fmamk_f16 v89, v18, 0xb5ac, v94
	v_mul_f16_e32 v96, 0x394e, v68
	v_add_f16_e32 v85, v87, v85
	v_fmamk_f16 v87, v41, 0xb9fd, v93
	v_add_f16_e32 v86, v90, v86
	v_add_f16_e32 v89, v89, v6
	v_fmamk_f16 v90, v19, 0xb9fd, v96
	v_mul_f16_e32 v97, 0x3770, v67
	v_add_f16_e32 v85, v87, v85
	v_mul_f16_e32 v101, 0x33a8, v70
	v_mul_f16_e32 v66, 0xb94e, v66
	v_add_f16_e32 v87, v90, v89
	v_fmamk_f16 v89, v20, 0x3b15, v97
	v_mul_f16_e32 v90, 0xbbf1, v69
	v_mul_f16_e32 v95, 0xbbc4, v64
	;; [unrolled: 1-line block ×4, first 2 shown]
	v_add_f16_e32 v87, v89, v87
	v_fmamk_f16 v89, v23, 0x2fb7, v90
	v_fmamk_f16 v98, v22, 0xb3a8, v95
	;; [unrolled: 1-line block ×3, first 2 shown]
	v_mul_f16_e32 v67, 0xba95, v67
	v_fma_f16 v68, v19, 0x2fb7, -v68
	v_add_f16_e32 v87, v89, v87
	v_fmamk_f16 v89, v24, 0xbbc4, v101
	v_add_f16_e32 v86, v98, v86
	v_fmamk_f16 v98, v31, 0xba95, v99
	v_mul_f16_e32 v100, 0xb9fd, v60
	v_mul_f16_e32 v69, 0x33a8, v69
	v_add_f16_e32 v87, v89, v87
	v_fmamk_f16 v89, v18, 0xb9fd, v66
	v_fma_f16 v66, v18, 0xb9fd, -v66
	v_add_f16_e32 v86, v98, v86
	v_fmamk_f16 v98, v15, 0x394e, v100
	v_mul_f16_e32 v102, 0x2fb7, v59
	v_add_f16_e32 v89, v89, v6
	v_add_f16_e32 v66, v66, v6
	v_mul_f16_e32 v70, 0x3770, v70
	v_add_f16_e32 v98, v98, v39
	v_fmamk_f16 v103, v16, 0xbbf1, v102
	v_add_f16_e32 v89, v106, v89
	v_fmamk_f16 v106, v20, 0x388b, v67
	v_add_f16_e32 v66, v68, v66
	v_fma_f16 v67, v20, 0x388b, -v67
	v_mul_f16_e32 v104, 0x388b, v62
	v_mul_f16_e32 v108, 0x3a95, v71
	;; [unrolled: 1-line block ×3, first 2 shown]
	v_add_f16_e32 v98, v103, v98
	v_add_f16_e32 v66, v67, v66
	v_fma_f16 v67, v23, 0xbbc4, -v69
	v_fmamk_f16 v103, v17, 0x3a95, v104
	v_mul_f16_e32 v105, 0xbbc4, v63
	v_mul_f16_e32 v107, 0x3b15, v64
	v_fmac_f16_e32 v84, 0xbb7b, v15
	v_add_f16_e32 v66, v67, v66
	v_fma_f16 v67, v24, 0x3b15, -v70
	v_add_f16_e32 v98, v103, v98
	v_fmamk_f16 v103, v21, 0xb3a8, v105
	v_add_f16_e32 v89, v106, v89
	v_fmamk_f16 v106, v23, 0xbbc4, v69
	v_add_f16_e32 v66, v67, v66
	v_fma_f16 v67, v41, 0xb5ac, -v71
	v_add_f16_e32 v98, v103, v98
	v_fmamk_f16 v103, v22, 0xb770, v107
	v_add_f16_e32 v84, v84, v39
	v_fmac_f16_e32 v81, 0x394e, v16
	v_add_f16_e32 v66, v67, v66
	v_alignbit_b32 v67, v6, v6, 16
	v_fmac_f16_e32 v72, 0xbbf1, v15
	v_add_f16_e32 v98, v103, v98
	v_add_f16_e32 v89, v106, v89
	v_fmamk_f16 v103, v24, 0x3b15, v70
	v_pk_add_f16 v7, v7, v67 op_sel:[0,1] op_sel_hi:[1,0]
	v_add_f16_e32 v81, v81, v84
	v_fmac_f16_e32 v88, 0x3770, v17
	v_fma_f16 v70, v18, 0xb5ac, -v94
	v_mul_f16_e32 v60, 0x388b, v60
	v_add_f16_e32 v72, v72, v39
	v_fmac_f16_e32 v73, 0xb3a8, v16
	v_pk_add_f16 v7, v13, v7
	v_fmac_f16_e32 v100, 0xb94e, v15
	v_add_f16_e32 v89, v103, v89
	v_fmamk_f16 v103, v41, 0xb5ac, v71
	v_add_f16_e32 v69, v88, v81
	v_add_f16_e32 v70, v70, v6
	v_fma_f16 v71, v19, 0xb9fd, -v96
	v_mul_f16_e32 v81, 0x3b15, v18
	v_mul_f16_e32 v59, 0xb5ac, v59
	v_add_f16_e32 v72, v73, v72
	v_fmac_f16_e32 v74, 0x3b7b, v17
	v_add_f16_e32 v49, v49, v60
	v_pk_add_f16 v7, v14, v7
	v_add_f16_e32 v100, v100, v39
	v_add_f16_e32 v70, v71, v70
	v_fma_f16 v71, v20, 0x3b15, -v97
	v_mul_f16_e32 v84, 0x388b, v19
	v_mul_f16_e32 v62, 0xbbc4, v62
	v_add_f16_e32 v72, v74, v72
	v_fmac_f16_e32 v75, 0x3770, v21
	v_fma_f16 v79, v18, 0x2fb7, -v79
	v_add_f16_e32 v39, v49, v39
	v_add_f16_e32 v49, v50, v59
	v_sub_f16_e32 v38, v81, v38
	v_pk_add_f16 v7, v9, v7
	v_add_f16_e32 v70, v71, v70
	v_mul_f16_e32 v71, 0x2fb7, v20
	v_mul_f16_e32 v63, 0xb9fd, v63
	v_add_f16_e32 v72, v75, v72
	v_add_f16_e32 v75, v79, v6
	;; [unrolled: 1-line block ×5, first 2 shown]
	v_sub_f16_e32 v36, v84, v36
	v_pk_add_f16 v7, v10, v7
	v_fma_f16 v88, v23, 0x2fb7, -v90
	v_mul_f16_e32 v73, 0xb5ac, v23
	v_mul_f16_e32 v64, 0x2fb7, v64
	v_add_f16_e32 v39, v49, v39
	v_add_f16_e32 v13, v51, v63
	;; [unrolled: 1-line block ×3, first 2 shown]
	v_sub_f16_e32 v9, v71, v37
	v_pk_add_f16 v4, v4, v7
	v_mul_f16_e32 v110, 0xb5ac, v65
	v_add_f16_e32 v70, v88, v70
	v_mul_f16_e32 v88, 0xb9fd, v24
	v_mul_f16_e32 v65, 0x3b15, v65
	v_add_f16_e32 v13, v13, v39
	v_add_f16_e32 v14, v57, v64
	;; [unrolled: 1-line block ×3, first 2 shown]
	v_sub_f16_e32 v9, v73, v44
	v_pk_add_f16 v4, v5, v4
	v_mul_f16_e32 v74, 0xbbc4, v41
	v_add_f16_e32 v13, v14, v13
	v_add_f16_e32 v14, v61, v65
	;; [unrolled: 1-line block ×3, first 2 shown]
	v_sub_f16_e32 v9, v88, v45
	v_pk_add_f16 v2, v2, v4
	v_and_b32_e32 v4, 0xffff, v32
	v_add_f16_e32 v10, v14, v13
	v_bfi_b32 v13, 0xffff, v26, v25
	v_add_f16_e32 v6, v9, v6
	v_sub_f16_e32 v9, v74, v54
	v_pk_mul_f16 v18, 0xbbc4, v18 op_sel_hi:[0,1]
	v_pk_add_f16 v2, v3, v2
	v_fmac_f16_e32 v102, 0x3bf1, v16
	v_bfi_b32 v7, 0xffff, v40, v35
	v_add_f16_e32 v6, v9, v6
	v_add_lshl_u32 v3, v29, v4, 2
	v_pk_add_f16 v4, v13, v67
	v_pk_fma_f16 v9, 0xb3a8, v15, v18 op_sel:[0,0,1] op_sel_hi:[0,1,0] neg_lo:[0,1,0] neg_hi:[0,1,0]
	v_pk_mul_f16 v13, 0x3b15, v19 op_sel_hi:[0,1]
	v_pk_add_f16 v0, v0, v2
	v_pk_fma_f16 v2, 0xb3a8, v15, v18 op_sel:[0,0,1] op_sel_hi:[0,1,0]
	v_fma_f16 v90, v24, 0xbbc4, -v101
	v_fmac_f16_e32 v76, 0xba95, v22
	v_fma_f16 v79, v19, 0xbbc4, -v80
	v_add_f16_e32 v100, v102, v100
	v_fmac_f16_e32 v104, 0xba95, v17
	v_bfi_b32 v14, 0xffff, v43, v42
	v_pk_add_f16 v4, v7, v4
	v_pk_add_f16 v7, v9, v67
	v_pk_fma_f16 v9, 0x3770, v16, v13 op_sel:[0,0,1] op_sel_hi:[0,1,0] neg_lo:[0,1,0] neg_hi:[0,1,0]
	v_pk_mul_f16 v15, 0xb9fd, v20 op_sel_hi:[0,1]
	v_pk_add_f16 v2, v2, v67
	v_pk_fma_f16 v13, 0x3770, v16, v13 op_sel:[0,0,1] op_sel_hi:[0,1,0]
	v_add_f16_e32 v70, v90, v70
	v_fma_f16 v80, v41, 0x388b, -v108
	v_add_f16_e32 v60, v76, v72
	v_add_f16_e32 v72, v79, v75
	v_fma_f16 v75, v20, 0xb5ac, -v82
	v_add_f16_e32 v68, v104, v100
	v_fmac_f16_e32 v105, 0x33a8, v21
	v_bfi_b32 v5, 0xffff, v47, v46
	v_pk_add_f16 v4, v14, v4
	v_pk_add_f16 v7, v9, v7
	v_pk_fma_f16 v9, 0xb94e, v17, v15 op_sel:[0,0,1] op_sel_hi:[0,1,0] neg_lo:[0,1,0] neg_hi:[0,1,0]
	v_pk_mul_f16 v14, 0x388b, v23 op_sel_hi:[0,1]
	v_pk_add_f16 v2, v13, v2
	v_pk_fma_f16 v13, 0xb94e, v17, v15 op_sel:[0,0,1] op_sel_hi:[0,1,0]
	v_fmac_f16_e32 v92, 0xbbf1, v21
	v_add_f16_e32 v50, v80, v70
	v_add_f16_e32 v59, v75, v72
	v_fma_f16 v70, v23, 0x3b15, -v83
	v_add_f16_e32 v68, v105, v68
	v_fmac_f16_e32 v107, 0x3770, v22
	v_bfi_b32 v25, 0xffff, v53, v48
	v_pk_add_f16 v4, v5, v4
	v_pk_add_f16 v5, v9, v7
	v_pk_fma_f16 v7, 0x3a95, v21, v14 op_sel:[0,0,1] op_sel_hi:[0,1,0] neg_lo:[0,1,0] neg_hi:[0,1,0]
	v_pk_mul_f16 v9, 0xb5ac, v24 op_sel_hi:[0,1]
	v_pk_add_f16 v2, v13, v2
	v_pk_fma_f16 v13, 0x3a95, v21, v14 op_sel:[0,0,1] op_sel_hi:[0,1,0]
	v_add_f16_e32 v69, v92, v69
	v_fmac_f16_e32 v95, 0x33a8, v22
	v_add_f16_e32 v52, v70, v59
	v_fma_f16 v59, v24, 0x388b, -v91
	v_fmamk_f16 v106, v31, 0x3b7b, v110
	v_add_f16_e32 v68, v107, v68
	v_fmac_f16_e32 v110, 0xbb7b, v31
	v_bfi_b32 v26, 0xffff, v56, v58
	v_pk_add_f16 v4, v25, v4
	v_pk_add_f16 v5, v7, v5
	v_pk_fma_f16 v7, 0xbb7b, v22, v9 op_sel:[0,0,1] op_sel_hi:[0,1,0] neg_lo:[0,1,0] neg_hi:[0,1,0]
	v_pk_mul_f16 v14, 0x2fb7, v41 op_sel_hi:[0,1]
	v_pk_add_f16 v2, v13, v2
	v_pk_fma_f16 v9, 0xbb7b, v22, v9 op_sel:[0,0,1] op_sel_hi:[0,1,0]
	v_add_f16_e32 v69, v95, v69
	v_fmac_f16_e32 v99, 0x3a95, v31
	v_fmac_f16_e32 v78, 0xb94e, v31
	v_add_f16_e32 v49, v59, v52
	v_fma_f16 v38, v41, 0xb9fd, -v93
	v_add_f16_e32 v68, v110, v68
	v_pk_add_f16 v0, v1, v0
	v_pk_add_f16 v1, v26, v4
	;; [unrolled: 1-line block ×3, first 2 shown]
	v_pk_fma_f16 v5, 0x3bf1, v31, v14 op_sel:[0,0,1] op_sel_hi:[0,1,0] neg_lo:[0,1,0] neg_hi:[0,1,0]
	v_pk_add_f16 v2, v9, v2
	v_pk_fma_f16 v7, 0x3bf1, v31, v14 op_sel:[0,0,1] op_sel_hi:[0,1,0]
	v_fmamk_f16 v109, v41, 0x388b, v108
	v_add_f16_e32 v69, v99, v69
	v_add_f16_e32 v60, v78, v60
	;; [unrolled: 1-line block ×3, first 2 shown]
	v_pk_add_f16 v0, v11, v0
	v_alignbit_b32 v9, v10, v1, 16
	v_pack_b32_f16 v10, v66, v68
	v_pk_add_f16 v4, v5, v4
	v_pk_add_f16 v2, v7, v2
	v_add_f16_e32 v87, v109, v87
	v_add_f16_e32 v98, v106, v98
	;; [unrolled: 1-line block ×3, first 2 shown]
	v_pack_b32_f16 v1, v6, v1
	v_pack_b32_f16 v5, v50, v69
	;; [unrolled: 1-line block ×3, first 2 shown]
	ds_store_2addr_b32 v3, v0, v10 offset1:5
	v_alignbit_b32 v0, v4, v2, 16
	v_alignbit_b32 v2, v2, v4, 16
	v_pack_b32_f16 v4, v87, v86
	v_pack_b32_f16 v7, v89, v98
	;; [unrolled: 1-line block ×3, first 2 shown]
	v_perm_b32 v11, v55, v12, 0x5040100
	v_perm_b32 v13, v34, v33, 0x5040100
	ds_store_2addr_b32 v3, v1, v9 offset0:1 offset1:2
	ds_store_2addr_b32 v3, v6, v5 offset0:3 offset1:4
	;; [unrolled: 1-line block ×5, first 2 shown]
	ds_store_b32 v3, v13 offset:48
.LBB0_7:
	s_wait_alu 0xfffe
	s_or_b32 exec_lo, exec_lo, s0
	v_add_co_u32 v13, s0, v28, -13
	s_wait_alu 0xf1ff
	v_add_co_ci_u32_e64 v14, null, 0, -1, s0
	v_cmp_gt_u16_e64 s0, 13, v28
	s_load_b128 s[4:7], s[4:5], 0x0
	global_wb scope:SCOPE_SE
	s_wait_dscnt 0x0
	s_wait_kmcnt 0x0
	s_barrier_signal -1
	s_barrier_wait -1
	v_cndmask_b32_e64 v11, v13, v28, s0
	global_inv scope:SCOPE_SE
	v_add_lshl_u32 v31, v29, v28, 2
	v_mul_hi_i32_i24_e32 v1, 10, v11
	v_mul_i32_i24_e32 v0, 10, v11
	s_delay_alu instid0(VALU_DEP_1) | instskip(NEXT) | instid1(VALU_DEP_1)
	v_lshlrev_b64_e32 v[0:1], 2, v[0:1]
	v_add_co_u32 v9, s1, s2, v0
	s_wait_alu 0xf1ff
	s_delay_alu instid0(VALU_DEP_2)
	v_add_co_ci_u32_e64 v10, s1, s3, v1, s1
	s_clause 0x2
	global_load_b128 v[4:7], v[9:10], off
	global_load_b128 v[0:3], v[9:10], off offset:16
	global_load_b64 v[9:10], v[9:10], off offset:32
	ds_load_2addr_b32 v[15:16], v31 offset1:26
	ds_load_2addr_b32 v[23:24], v31 offset0:52 offset1:78
	ds_load_2addr_b32 v[21:22], v31 offset0:104 offset1:130
	;; [unrolled: 1-line block ×4, first 2 shown]
	ds_load_b32 v26, v31 offset:1040
	v_cmp_lt_u16_e64 s1, 12, v28
	global_wb scope:SCOPE_SE
	s_wait_loadcnt_dscnt 0x0
	s_barrier_signal -1
	s_barrier_wait -1
	global_inv scope:SCOPE_SE
	s_wait_alu 0xf1ff
	v_cndmask_b32_e64 v25, 0, 0x8f, s1
	s_delay_alu instid0(VALU_DEP_1) | instskip(SKIP_2) | instid1(VALU_DEP_3)
	v_add_nc_u32_e32 v11, v11, v25
	v_lshrrev_b32_e32 v25, 16, v16
	v_lshrrev_b32_e32 v35, 16, v23
	v_add_lshl_u32 v36, v29, v11, 2
	v_lshrrev_b32_e32 v11, 16, v15
	v_lshrrev_b32_e32 v43, 16, v18
	;; [unrolled: 1-line block ×14, first 2 shown]
	v_mul_f16_e32 v45, v25, v59
	v_mul_f16_e32 v46, v16, v59
	v_lshrrev_b32_e32 v57, 16, v7
	v_lshrrev_b32_e32 v56, 16, v0
	;; [unrolled: 1-line block ×5, first 2 shown]
	v_mul_f16_e32 v47, v35, v60
	v_mul_f16_e32 v48, v23, v60
	;; [unrolled: 1-line block ×5, first 2 shown]
	v_fma_f16 v16, v16, v4, -v45
	v_fmac_f16_e32 v46, v25, v4
	v_mul_f16_e32 v49, v37, v58
	v_mul_f16_e32 v61, v24, v58
	v_mul_f16_e32 v62, v38, v57
	v_mul_f16_e32 v63, v21, v57
	v_mul_f16_e32 v64, v39, v56
	v_mul_f16_e32 v65, v22, v56
	v_mul_f16_e32 v66, v40, v54
	v_mul_f16_e32 v67, v19, v54
	v_mul_f16_e32 v68, v41, v53
	v_mul_f16_e32 v69, v20, v53
	v_mul_f16_e32 v70, v42, v52
	v_mul_f16_e32 v71, v17, v52
	v_mul_f16_e32 v73, v18, v50
	v_fma_f16 v23, v23, v5, -v47
	v_fmac_f16_e32 v48, v35, v5
	v_fma_f16 v18, v18, v9, -v72
	v_fma_f16 v25, v26, v10, -v74
	v_fmac_f16_e32 v75, v44, v10
	v_add_f16_e32 v26, v15, v16
	v_add_f16_e32 v35, v11, v46
	v_fma_f16 v24, v24, v6, -v49
	v_fmac_f16_e32 v61, v37, v6
	v_fma_f16 v21, v21, v7, -v62
	v_fmac_f16_e32 v63, v38, v7
	;; [unrolled: 2-line block ×6, first 2 shown]
	v_fmac_f16_e32 v73, v43, v9
	v_add_f16_e32 v37, v16, v25
	v_sub_f16_e32 v16, v16, v25
	v_sub_f16_e32 v39, v46, v75
	v_add_f16_e32 v40, v23, v18
	v_sub_f16_e32 v42, v23, v18
	v_add_f16_e32 v23, v26, v23
	v_add_f16_e32 v26, v35, v48
	;; [unrolled: 1-line block ×4, first 2 shown]
	v_sub_f16_e32 v43, v48, v73
	v_add_f16_e32 v44, v24, v17
	v_sub_f16_e32 v46, v24, v17
	v_sub_f16_e32 v47, v61, v71
	;; [unrolled: 1-line block ×6, first 2 shown]
	v_mul_f16_e32 v35, 0xb853, v39
	v_mul_f16_e32 v48, 0xb853, v16
	;; [unrolled: 1-line block ×10, first 2 shown]
	v_add_f16_e32 v23, v23, v24
	v_add_f16_e32 v24, v26, v61
	;; [unrolled: 1-line block ×7, first 2 shown]
	v_mul_f16_e32 v82, 0xbb47, v43
	v_mul_f16_e32 v83, 0xbb47, v42
	;; [unrolled: 1-line block ×40, first 2 shown]
	v_fma_f16 v26, v37, 0x3abb, -v35
	v_fmamk_f16 v61, v38, 0x3abb, v48
	v_fmac_f16_e32 v35, 0x3abb, v37
	v_fma_f16 v48, v38, 0x3abb, -v48
	v_fma_f16 v114, v37, 0x36a6, -v76
	v_fmamk_f16 v115, v38, 0x36a6, v77
	v_fmac_f16_e32 v76, 0x36a6, v37
	v_fma_f16 v77, v38, 0x36a6, -v77
	;; [unrolled: 4-line block ×5, first 2 shown]
	v_add_f16_e32 v21, v23, v21
	v_add_f16_e32 v23, v24, v63
	v_fma_f16 v37, v40, 0x36a6, -v82
	v_fmamk_f16 v38, v41, 0x36a6, v83
	v_fmac_f16_e32 v82, 0x36a6, v40
	v_fma_f16 v83, v41, 0x36a6, -v83
	v_fma_f16 v122, v40, 0xb93d, -v84
	v_fmamk_f16 v123, v41, 0xb93d, v85
	v_fmac_f16_e32 v84, 0xb93d, v40
	v_fma_f16 v85, v41, 0xb93d, -v85
	;; [unrolled: 4-line block ×4, first 2 shown]
	v_fma_f16 v128, v40, 0x3abb, -v43
	v_fma_f16 v129, 0x3abb, v41, v42
	v_fmac_f16_e32 v43, 0x3abb, v40
	v_fma_f16 v40, v41, 0x3abb, -v42
	v_fma_f16 v41, v44, 0xb08e, -v90
	v_fmamk_f16 v42, v45, 0xb08e, v91
	v_fmac_f16_e32 v90, 0xb08e, v44
	v_fma_f16 v91, v45, 0xb08e, -v91
	v_fma_f16 v130, v44, 0xbbad, -v92
	v_fma_f16 v131, 0xbbad, v45, v93
	v_fmac_f16_e32 v92, 0xbbad, v44
	v_fma_f16 v93, v45, 0xbbad, -v93
	v_fma_f16 v132, v44, 0x36a6, -v94
	v_fma_f16 v133, 0x36a6, v45, v95
	;; [unrolled: 4-line block ×4, first 2 shown]
	v_fmac_f16_e32 v47, 0xb93d, v44
	v_fma_f16 v44, v45, 0xb93d, -v46
	v_fma_f16 v45, v49, 0xb93d, -v98
	v_fmac_f16_e32 v98, 0xb93d, v49
	v_fma_f16 v46, v49, 0xb08e, -v99
	v_fmac_f16_e32 v99, 0xb08e, v49
	v_fma_f16 v138, v49, 0x3abb, -v100
	v_fmac_f16_e32 v100, 0x3abb, v49
	v_fma_f16 v139, v49, 0xbbad, -v101
	v_fmac_f16_e32 v101, 0xbbad, v49
	v_fma_f16 v140, v49, 0x36a6, -v62
	v_fmac_f16_e32 v62, 0x36a6, v49
	v_fmamk_f16 v49, v66, 0xb93d, v102
	v_fma_f16 v102, v66, 0xb93d, -v102
	v_fma_f16 v141, 0xb08e, v66, v103
	v_fma_f16 v103, v66, 0xb08e, -v103
	v_fma_f16 v142, 0x3abb, v66, v104
	;; [unrolled: 2-line block ×4, first 2 shown]
	v_fma_f16 v64, v66, 0x36a6, -v64
	v_fma_f16 v66, v70, 0xbbad, -v106
	v_fmac_f16_e32 v106, 0xbbad, v70
	v_fma_f16 v145, v70, 0x3abb, -v107
	v_fmac_f16_e32 v107, 0x3abb, v70
	;; [unrolled: 2-line block ×5, first 2 shown]
	v_fmamk_f16 v70, v74, 0xbbad, v110
	v_fma_f16 v110, v74, 0xbbad, -v110
	v_fma_f16 v149, 0x3abb, v74, v111
	v_fma_f16 v111, v74, 0x3abb, -v111
	v_fma_f16 v150, 0xb93d, v74, v112
	v_fma_f16 v112, v74, 0xb93d, -v112
	v_fma_f16 v151, 0x36a6, v74, v113
	v_fma_f16 v113, v74, 0x36a6, -v113
	v_fma_f16 v152, 0xb08e, v74, v72
	v_fma_f16 v72, v74, 0xb08e, -v72
	v_add_f16_e32 v26, v15, v26
	v_add_f16_e32 v35, v15, v35
	;; [unrolled: 1-line block ×39, first 2 shown]
	v_add_f16_e64 v79, v128, v118
	v_add_f16_e64 v80, v129, v115
	v_add_f16_e32 v78, v89, v81
	v_add_f16_e32 v15, v43, v15
	;; [unrolled: 1-line block ×9, first 2 shown]
	v_add_f16_e64 v26, v130, v35
	v_add_f16_e64 v35, v131, v37
	v_add_f16_e32 v37, v92, v38
	v_add_f16_e32 v38, v93, v39
	v_add_f16_e64 v39, v132, v48
	v_add_f16_e64 v40, v133, v61
	v_add_f16_e32 v41, v94, v63
	v_add_f16_e32 v42, v95, v65
	v_add_f16_e64 v43, v134, v74
	v_add_f16_e64 v48, v135, v76
	v_add_f16_e32 v61, v96, v77
	v_add_f16_e64 v65, v136, v79
	v_add_f16_e64 v67, v137, v80
	v_add_f16_e32 v63, v97, v78
	v_add_f16_e32 v15, v47, v15
	;; [unrolled: 1-line block ×10, first 2 shown]
	v_add_f16_e64 v26, v141, v35
	v_add_f16_e32 v35, v99, v37
	v_add_f16_e32 v37, v103, v38
	v_add_f16_e64 v38, v138, v39
	v_add_f16_e64 v39, v142, v40
	v_add_f16_e32 v40, v100, v41
	v_add_f16_e32 v41, v104, v42
	v_add_f16_e64 v42, v139, v43
	v_add_f16_e64 v43, v143, v48
	v_add_f16_e32 v44, v101, v61
	v_add_f16_e64 v46, v140, v65
	v_add_f16_e64 v47, v144, v67
	v_add_f16_e32 v45, v105, v63
	v_add_f16_e32 v15, v62, v15
	;; [unrolled: 1-line block ×9, first 2 shown]
	v_add_f16_e64 v21, v145, v24
	v_add_f16_e64 v22, v149, v26
	v_add_f16_e32 v23, v107, v35
	v_add_f16_e32 v24, v111, v37
	v_add_f16_e64 v26, v146, v38
	v_add_f16_e64 v35, v150, v39
	v_add_f16_e32 v37, v108, v40
	v_add_f16_e32 v38, v112, v41
	v_add_f16_e64 v39, v147, v42
	v_add_f16_e64 v40, v151, v43
	v_add_f16_e32 v41, v109, v44
	v_add_f16_e64 v43, v148, v46
	v_add_f16_e64 v44, v152, v47
	v_add_f16_e32 v42, v113, v45
	v_add_f16_e32 v15, v68, v15
	;; [unrolled: 1-line block ×5, first 2 shown]
	v_pack_b32_f16 v18, v19, v20
	v_pack_b32_f16 v19, v21, v22
	;; [unrolled: 1-line block ×11, first 2 shown]
	ds_store_2addr_b32 v36, v19, v20 offset0:26 offset1:39
	ds_store_2addr_b32 v36, v21, v22 offset0:52 offset1:65
	;; [unrolled: 1-line block ×4, first 2 shown]
	ds_store_b32 v36, v24 offset:520
	ds_store_2addr_b32 v36, v16, v18 offset1:13
	global_wb scope:SCOPE_SE
	s_wait_dscnt 0x0
	s_barrier_signal -1
	s_barrier_wait -1
	global_inv scope:SCOPE_SE
	ds_load_2addr_b32 v[25:26], v31 offset1:26
	ds_load_2addr_b32 v[15:16], v31 offset0:104 offset1:143
	ds_load_2addr_b32 v[21:22], v31 offset0:169 offset1:195
	;; [unrolled: 1-line block ×4, first 2 shown]
	s_and_saveexec_b32 s1, s0
	s_cbranch_execz .LBB0_9
; %bb.8:
	v_add_nc_u32_e32 v11, 0x200, v31
	v_add_co_u32 v13, s10, 0x82, v28
	s_wait_alu 0xf1ff
	v_add_co_ci_u32_e64 v14, null, 0, 0, s10
	ds_load_2addr_b32 v[11:12], v11 offset0:2 offset1:145
	s_wait_dscnt 0x0
	v_lshrrev_b32_e32 v70, 16, v11
	v_lshrrev_b32_e32 v55, 16, v12
.LBB0_9:
	s_wait_alu 0xfffe
	s_or_b32 exec_lo, exec_lo, s1
	v_lshlrev_b64_e32 v[13:14], 2, v[13:14]
	s_clause 0x4
	global_load_b32 v41, v27, s[2:3] offset:520
	global_load_b32 v38, v27, s[2:3] offset:624
	;; [unrolled: 1-line block ×5, first 2 shown]
	s_wait_dscnt 0x2
	v_lshrrev_b32_e32 v24, 16, v22
	s_wait_dscnt 0x0
	v_lshrrev_b32_e32 v43, 16, v17
	v_lshrrev_b32_e32 v61, 16, v18
	;; [unrolled: 1-line block ×3, first 2 shown]
	v_add_co_u32 v13, s1, s2, v13
	s_wait_alu 0xf1ff
	v_add_co_ci_u32_e64 v14, s1, s3, v14, s1
	v_lshrrev_b32_e32 v66, 16, v26
	v_lshrrev_b32_e32 v71, 16, v20
	;; [unrolled: 1-line block ×3, first 2 shown]
	global_load_b32 v37, v[13:14], off offset:520
	v_lshrrev_b32_e32 v13, 16, v16
	v_lshrrev_b32_e32 v14, 16, v21
	;; [unrolled: 1-line block ×3, first 2 shown]
	v_lshl_add_u32 v35, v28, 2, v30
	v_add_nc_u32_e32 v49, v27, v30
	s_wait_loadcnt 0x5
	v_lshrrev_b32_e32 v48, 16, v41
	s_wait_loadcnt 0x4
	v_lshrrev_b32_e32 v47, 16, v38
	;; [unrolled: 2-line block ×5, first 2 shown]
	v_mul_f16_e32 v62, v13, v48
	v_mul_f16_e32 v63, v16, v48
	;; [unrolled: 1-line block ×9, first 2 shown]
	v_fma_f16 v16, v16, v41, -v62
	v_fmac_f16_e32 v63, v13, v41
	v_fma_f16 v13, v21, v38, -v64
	v_fmac_f16_e32 v65, v14, v38
	v_fmac_f16_e32 v74, v43, v39
	s_wait_loadcnt 0x0
	v_lshrrev_b32_e32 v43, 16, v37
	v_mul_f16_e32 v76, v18, v44
	v_fma_f16 v21, v22, v42, -v67
	v_fmac_f16_e32 v69, v24, v42
	v_fma_f16 v17, v17, v39, -v73
	v_fma_f16 v62, v18, v40, -v75
	v_sub_f16_e32 v14, v25, v16
	v_sub_f16_e32 v67, v23, v63
	;; [unrolled: 1-line block ×5, first 2 shown]
	v_mul_f16_e32 v73, v55, v43
	v_mul_f16_e32 v74, v12, v43
	v_fmac_f16_e32 v76, v61, v40
	v_sub_f16_e32 v22, v19, v21
	v_sub_f16_e32 v64, v68, v69
	;; [unrolled: 1-line block ×4, first 2 shown]
	v_fma_f16 v13, v25, 2.0, -v14
	v_fma_f16 v62, v23, 2.0, -v67
	;; [unrolled: 1-line block ×4, first 2 shown]
	v_fma_f16 v12, v12, v37, -v73
	v_fmac_f16_e32 v74, v55, v37
	v_sub_f16_e32 v61, v72, v76
	v_fma_f16 v21, v19, 2.0, -v22
	v_fma_f16 v17, v20, 2.0, -v18
	v_pack_b32_f16 v19, v13, v62
	v_pack_b32_f16 v55, v23, v69
	v_sub_f16_e32 v20, v11, v12
	v_sub_f16_e32 v12, v70, v74
	v_fma_f16 v68, v68, 2.0, -v64
	v_fma_f16 v66, v71, 2.0, -v63
	;; [unrolled: 1-line block ×4, first 2 shown]
	v_pack_b32_f16 v71, v24, v65
	v_pack_b32_f16 v72, v22, v64
	ds_store_2addr_b32 v35, v19, v55 offset1:26
	v_fma_f16 v19, v11, 2.0, -v20
	v_fma_f16 v55, v70, 2.0, -v12
	v_pack_b32_f16 v73, v21, v68
	v_pack_b32_f16 v74, v17, v66
	;; [unrolled: 1-line block ×6, first 2 shown]
	ds_store_2addr_b32 v35, v71, v72 offset0:169 offset1:195
	ds_store_2addr_b32 v35, v73, v74 offset0:52 offset1:78
	ds_store_b32 v35, v75 offset:884
	ds_store_2addr_b32 v35, v77, v25 offset0:104 offset1:143
	ds_store_b32 v49, v76 offset:988
	s_and_saveexec_b32 s1, s0
	s_cbranch_execz .LBB0_11
; %bb.10:
	v_perm_b32 v11, v55, v19, 0x5040100
	v_perm_b32 v25, v12, v20, 0x5040100
	v_add_nc_u32_e32 v70, 0x200, v35
	ds_store_2addr_b32 v70, v11, v25 offset0:2 offset1:145
.LBB0_11:
	s_wait_alu 0xfffe
	s_or_b32 exec_lo, exec_lo, s1
	global_wb scope:SCOPE_SE
	s_wait_dscnt 0x0
	s_barrier_signal -1
	s_barrier_wait -1
	global_inv scope:SCOPE_SE
	s_and_saveexec_b32 s1, vcc_lo
	s_cbranch_execz .LBB0_13
; %bb.12:
	s_add_nc_u64 s[2:3], s[20:21], 0x478
	s_clause 0xc
	global_load_b32 v11, v27, s[20:21] offset:1144
	global_load_b32 v25, v27, s[2:3] offset:88
	;; [unrolled: 1-line block ×13, first 2 shown]
	ds_load_2addr_b32 v[70:71], v35 offset1:22
	ds_load_2addr_b32 v[72:73], v35 offset0:44 offset1:66
	ds_load_2addr_b32 v[74:75], v35 offset0:88 offset1:110
	;; [unrolled: 1-line block ×5, first 2 shown]
	ds_load_b32 v93, v35 offset:1056
	s_wait_dscnt 0x6
	v_lshrrev_b32_e32 v94, 16, v70
	v_lshrrev_b32_e32 v95, 16, v71
	s_wait_dscnt 0x5
	v_lshrrev_b32_e32 v96, 16, v72
	v_lshrrev_b32_e32 v97, 16, v73
	;; [unrolled: 3-line block ×6, first 2 shown]
	s_wait_dscnt 0x0
	v_lshrrev_b32_e32 v106, 16, v93
	s_wait_loadcnt 0xc
	v_lshrrev_b32_e32 v107, 16, v11
	s_wait_loadcnt 0xb
	;; [unrolled: 2-line block ×13, first 2 shown]
	v_lshrrev_b32_e32 v119, 16, v92
	v_mul_f16_e32 v120, v94, v107
	v_mul_f16_e32 v107, v70, v107
	;; [unrolled: 1-line block ×16, first 2 shown]
	v_mul_f16_e64 v128, v102, v115
	v_mul_f16_e32 v115, v78, v115
	v_mul_f16_e64 v129, v103, v116
	v_mul_f16_e32 v116, v79, v116
	;; [unrolled: 2-line block ×5, first 2 shown]
	v_fma_f16 v70, v70, v11, -v120
	v_fmac_f16_e32 v107, v94, v11
	v_fma_f16 v11, v71, v25, -v121
	v_fmac_f16_e32 v108, v95, v25
	;; [unrolled: 2-line block ×13, first 2 shown]
	v_pack_b32_f16 v70, v70, v107
	v_pack_b32_f16 v11, v11, v108
	;; [unrolled: 1-line block ×13, first 2 shown]
	ds_store_2addr_b32 v35, v70, v11 offset1:22
	ds_store_2addr_b32 v35, v25, v71 offset0:44 offset1:66
	ds_store_2addr_b32 v35, v72, v73 offset0:88 offset1:110
	;; [unrolled: 1-line block ×5, first 2 shown]
	ds_store_b32 v35, v80 offset:1056
.LBB0_13:
	s_wait_alu 0xfffe
	s_or_b32 exec_lo, exec_lo, s1
	global_wb scope:SCOPE_SE
	s_wait_dscnt 0x0
	s_barrier_signal -1
	s_barrier_wait -1
	global_inv scope:SCOPE_SE
	s_and_saveexec_b32 s1, vcc_lo
	s_cbranch_execz .LBB0_15
; %bb.14:
	ds_load_2addr_b32 v[13:14], v35 offset1:22
	ds_load_2addr_b32 v[23:24], v35 offset0:44 offset1:66
	ds_load_2addr_b32 v[21:22], v35 offset0:88 offset1:110
	;; [unrolled: 1-line block ×5, first 2 shown]
	ds_load_b32 v33, v35 offset:1056
	s_wait_dscnt 0x6
	v_lshrrev_b32_e32 v62, 16, v13
	v_lshrrev_b32_e32 v67, 16, v14
	s_wait_dscnt 0x5
	v_lshrrev_b32_e32 v69, 16, v23
	v_lshrrev_b32_e32 v65, 16, v24
	;; [unrolled: 3-line block ×6, first 2 shown]
	s_wait_dscnt 0x0
	v_lshrrev_b32_e32 v34, 16, v33
.LBB0_15:
	s_wait_alu 0xfffe
	s_or_b32 exec_lo, exec_lo, s1
	s_delay_alu instid0(VALU_DEP_1)
	v_sub_f16_e32 v82, v67, v34
	v_add_f16_e32 v89, v34, v67
	v_add_f16_e32 v70, v33, v14
	v_sub_f16_e32 v84, v69, v12
	v_sub_f16_e32 v73, v14, v33
	v_mul_f16_e32 v93, 0xba95, v82
	v_mul_f16_e32 v100, 0x388b, v89
	v_add_f16_e32 v71, v20, v23
	v_add_f16_e32 v91, v12, v69
	v_mul_f16_e32 v96, 0xbb7b, v84
	v_fma_f16 v11, v70, 0x388b, -v93
	v_fmamk_f16 v25, v73, 0xba95, v100
	v_sub_f16_e32 v72, v23, v20
	v_mul_f16_e32 v103, 0xb5ac, v91
	v_sub_f16_e32 v86, v65, v55
	v_add_f16_e32 v11, v13, v11
	v_fma_f16 v75, v71, 0xb5ac, -v96
	v_add_f16_e32 v92, v55, v65
	v_add_f16_e32 v25, v62, v25
	v_fmamk_f16 v76, v72, 0xbb7b, v103
	v_add_f16_e32 v74, v19, v24
	v_mul_f16_e32 v97, 0xb3a8, v86
	v_add_f16_e32 v11, v75, v11
	v_sub_f16_e32 v75, v24, v19
	v_mul_f16_e32 v104, 0xbbc4, v92
	v_sub_f16_e32 v83, v68, v61
	v_add_f16_e32 v25, v76, v25
	v_fma_f16 v78, v74, 0xbbc4, -v97
	v_add_f16_e32 v94, v61, v68
	v_fmamk_f16 v79, v75, 0xb3a8, v104
	v_add_f16_e32 v76, v16, v21
	v_mul_f16_e32 v99, 0x394e, v83
	v_sub_f16_e32 v77, v21, v16
	v_mul_f16_e32 v105, 0xb9fd, v94
	v_add_f16_e32 v11, v78, v11
	v_add_f16_e32 v25, v79, v25
	v_sub_f16_e32 v85, v64, v26
	v_fma_f16 v79, v76, 0xb9fd, -v99
	v_add_f16_e32 v95, v26, v64
	v_fmamk_f16 v80, v77, 0x394e, v105
	v_add_f16_e32 v78, v15, v22
	v_mul_f16_e32 v101, 0x3bf1, v85
	v_add_f16_e32 v11, v79, v11
	v_sub_f16_e32 v79, v22, v15
	v_mul_f16_e32 v107, 0x2fb7, v95
	v_sub_f16_e32 v87, v66, v63
	v_add_f16_e32 v88, v63, v66
	v_add_f16_e32 v25, v80, v25
	v_fma_f16 v90, v78, 0x2fb7, -v101
	v_fmamk_f16 v98, v79, 0x3bf1, v107
	v_add_f16_e32 v80, v18, v17
	v_sub_f16_e32 v81, v17, v18
	v_mul_f16_e32 v102, 0x3770, v87
	v_mul_f16_e32 v106, 0x3b15, v88
	v_add_f16_e32 v11, v90, v11
	v_add_f16_e32 v25, v98, v25
	global_wb scope:SCOPE_SE
	v_fma_f16 v90, v80, 0x3b15, -v102
	v_fmamk_f16 v98, v81, 0x3770, v106
	s_barrier_signal -1
	s_barrier_wait -1
	global_inv scope:SCOPE_SE
	v_add_f16_e32 v11, v90, v11
	v_add_f16_e32 v25, v98, v25
	s_and_saveexec_b32 s1, vcc_lo
	s_cbranch_execz .LBB0_17
; %bb.16:
	v_mul_f16_e32 v110, 0xbbf1, v73
	v_mul_f16_e32 v115, 0xb3a8, v72
	;; [unrolled: 1-line block ×5, first 2 shown]
	v_fmamk_f16 v90, v89, 0x2fb7, v110
	v_fmamk_f16 v98, v91, 0xbbc4, v115
	v_mul_f16_e64 v130, 0xb94e, v81
	v_mul_f16_e32 v122, 0xbbf1, v82
	v_mul_f16_e64 v132, 0xbb7b, v73
	v_add_f16_e32 v90, v62, v90
	v_mul_f16_e32 v126, 0xb3a8, v84
	v_mul_f16_e64 v134, 0x394e, v72
	v_fma_f16 v125, v70, 0x2fb7, -v122
	v_mul_f16_e64 v129, 0x3b7b, v86
	v_add_f16_e32 v90, v98, v90
	v_fmamk_f16 v98, v92, 0xb5ac, v119
	v_fma_f16 v128, v71, 0xbbc4, -v126
	v_add_f16_e32 v125, v13, v125
	v_fma_f16 v136, 0xb9fd, v91, v134
	v_mul_f16_e64 v137, 0x3770, v75
	v_add_f16_e32 v90, v98, v90
	v_fmamk_f16 v98, v94, 0x3b15, v123
	v_add_f16_e64 v125, v128, v125
	v_fma_f16 v128, v74, 0xb5ac, -v129
	v_mul_f16_e64 v131, 0x3770, v83
	v_fma_f16 v139, 0x3b15, v92, v137
	v_add_f16_e32 v90, v98, v90
	v_fmamk_f16 v98, v95, 0x388b, v127
	v_mul_f16_e64 v140, 0xbbf1, v77
	v_add_f16_e64 v125, v128, v125
	v_fma_f16 v128, v76, 0x3b15, -v131
	v_mul_f16_e64 v133, 0xba95, v85
	v_add_f16_e32 v90, v98, v90
	v_fma_f16 v98, 0xb9fd, v88, v130
	v_mul_f16_e64 v141, 0x33a8, v79
	v_add_f16_e64 v125, v128, v125
	v_fma_f16 v128, v78, 0x388b, -v133
	v_mul_f16_e64 v135, 0xb94e, v87
	v_add_f16_e32 v90, v98, v90
	v_fma_f16 v98, 0xb5ac, v89, v132
	v_mul_f16_e64 v144, 0x3a95, v81
	v_add_f16_e64 v125, v128, v125
	v_fma_f16 v128, v80, 0xb9fd, -v135
	v_mul_f16_e64 v138, 0xbb7b, v82
	v_add_f16_e32 v98, v62, v98
	v_mul_f16_e64 v146, 0xb94e, v73
	v_mul_f16_e64 v148, 0x3bf1, v72
	;; [unrolled: 1-line block ×3, first 2 shown]
	v_mul_f16_e32 v109, 0xba95, v73
	v_add_f16_e64 v136, v136, v98
	v_add_f16_e64 v98, v128, v125
	v_fma_f16 v125, v70, 0xb5ac, -v138
	v_mul_f16_e64 v128, 0x394e, v84
	v_fma_f16 v150, 0x2fb7, v91, v148
	v_add_f16_e64 v136, v139, v136
	v_fma_f16 v139, 0x2fb7, v94, v140
	v_add_f16_e32 v125, v13, v125
	v_fma_f16 v142, v71, 0xb9fd, -v128
	v_mul_f16_e64 v151, 0xba95, v75
	v_mul_f16_e64 v145, 0xbbf1, v83
	v_add_f16_e64 v136, v139, v136
	v_fma_f16 v139, 0xbbc4, v95, v141
	v_add_f16_e64 v125, v142, v125
	v_fma_f16 v142, v74, 0x3b15, -v143
	v_mul_f16_e32 v112, 0xbb7b, v72
	v_mul_f16_e64 v153, 0x33a8, v77
	v_add_f16_e64 v136, v139, v136
	v_fma_f16 v139, 0x388b, v88, v144
	v_sub_f16_e32 v100, v100, v109
	v_add_f16_e64 v125, v142, v125
	v_fma_f16 v142, v76, 0x2fb7, -v145
	v_mul_f16_e64 v147, 0x33a8, v85
	v_add_f16_e64 v136, v139, v136
	v_fma_f16 v139, 0xb9fd, v89, v146
	v_mul_f16_e32 v114, 0xb3a8, v75
	v_mul_f16_e64 v155, 0x3770, v79
	v_add_f16_e32 v100, v62, v100
	v_sub_f16_e32 v103, v103, v112
	v_add_f16_e64 v139, v62, v139
	v_add_f16_e64 v125, v142, v125
	v_fma_f16 v142, v78, 0xbbc4, -v147
	v_mul_f16_e64 v149, 0x3a95, v87
	v_mul_f16_e32 v108, 0x388b, v70
	v_add_f16_e64 v139, v150, v139
	v_fma_f16 v150, 0x388b, v92, v151
	v_mul_f16_e32 v117, 0x394e, v77
	v_mul_f16_e64 v158, 0xbb7b, v81
	v_add_f16_e32 v100, v103, v100
	v_sub_f16_e32 v103, v104, v114
	v_add_f16_e64 v139, v150, v139
	v_fma_f16 v150, 0xbbc4, v94, v153
	v_add_f16_e64 v125, v142, v125
	v_fma_f16 v142, v80, 0x388b, -v149
	v_mul_f16_e64 v152, 0xb94e, v82
	v_mul_f16_e32 v111, 0xb5ac, v71
	v_add_f16_e64 v139, v150, v139
	v_fma_f16 v150, 0x3b15, v95, v155
	v_mul_f16_e32 v120, 0x3bf1, v79
	v_mul_f16_e64 v160, 0xb3a8, v73
	v_add_f16_e32 v93, v108, v93
	v_add_f16_e32 v100, v103, v100
	v_add_f16_e64 v139, v150, v139
	v_fma_f16 v150, 0xb5ac, v88, v158
	v_sub_f16_e32 v103, v105, v117
	v_add_f16_e64 v125, v142, v125
	v_fma_f16 v142, v70, 0xb9fd, -v152
	v_mul_f16_e64 v154, 0x3bf1, v84
	v_mul_f16_e32 v113, 0xbbc4, v74
	v_add_f16_e64 v139, v150, v139
	v_fma_f16 v150, 0xbbc4, v89, v160
	v_mul_f16_e64 v162, 0x3770, v72
	v_fma_f16 v160, v89, 0xbbc4, -v160
	v_fma_f16 v146, v89, 0xb9fd, -v146
	;; [unrolled: 1-line block ×4, first 2 shown]
	v_add_f16_e32 v93, v13, v93
	v_add_f16_e32 v96, v111, v96
	;; [unrolled: 1-line block ×3, first 2 shown]
	v_sub_f16_e32 v103, v107, v120
	v_mul_f16_e32 v89, 0x3b15, v89
	v_add_f16_e64 v142, v13, v142
	v_fma_f16 v156, v71, 0x2fb7, -v154
	v_mul_f16_e64 v157, 0xba95, v86
	v_mul_f16_e32 v116, 0xb9fd, v76
	v_add_f16_e64 v150, v62, v150
	v_fma_f16 v164, 0x3b15, v91, v162
	v_mul_f16_e64 v165, 0xb94e, v75
	v_add_f16_e64 v160, v62, v160
	v_fma_f16 v162, v91, 0x3b15, -v162
	v_add_f16_e64 v146, v62, v146
	v_fma_f16 v148, v91, 0x2fb7, -v148
	;; [unrolled: 2-line block ×3, first 2 shown]
	v_add_f16_e32 v110, v62, v110
	v_fma_f16 v115, v91, 0xbbc4, -v115
	v_add_f16_e32 v93, v96, v93
	v_add_f16_e32 v96, v113, v97
	;; [unrolled: 1-line block ×3, first 2 shown]
	v_fmamk_f16 v100, v73, 0x3770, v89
	v_mul_f16_e32 v91, 0x388b, v91
	v_add_f16_e64 v142, v156, v142
	v_fma_f16 v156, v74, 0x388b, -v157
	v_mul_f16_e64 v159, 0x33a8, v83
	v_mul_f16_e32 v118, 0x2fb7, v78
	v_add_f16_e64 v150, v164, v150
	v_fma_f16 v164, 0xb9fd, v92, v165
	v_mul_f16_e64 v167, 0x3a95, v77
	v_add_f16_e64 v160, v162, v160
	v_fma_f16 v162, v92, 0xb9fd, -v165
	v_add_f16_e64 v146, v148, v146
	v_fma_f16 v148, v92, 0x388b, -v151
	;; [unrolled: 2-line block ×3, first 2 shown]
	v_add_f16_e32 v110, v115, v110
	v_fma_f16 v115, v92, 0xb5ac, -v119
	v_add_f16_e32 v93, v96, v93
	v_add_f16_e32 v96, v116, v99
	;; [unrolled: 1-line block ×3, first 2 shown]
	v_fmamk_f16 v100, v72, 0x3a95, v91
	v_mul_f16_e32 v92, 0x2fb7, v92
	v_add_f16_e64 v142, v156, v142
	v_fma_f16 v156, v76, 0xbbc4, -v159
	v_mul_f16_e64 v161, 0x3770, v85
	v_mul_f16_e32 v121, 0x3b15, v80
	v_mul_f16_e64 v166, 0xb3a8, v82
	v_add_f16_e64 v150, v164, v150
	v_fma_f16 v164, 0x388b, v94, v167
	v_add_f16_e64 v160, v162, v160
	v_fma_f16 v162, v94, 0x388b, -v167
	v_add_f16_e64 v146, v148, v146
	v_fma_f16 v148, v94, 0xbbc4, -v153
	;; [unrolled: 2-line block ×3, first 2 shown]
	v_add_f16_e32 v110, v115, v110
	v_fma_f16 v115, v94, 0x3b15, -v123
	v_add_f16_e32 v93, v96, v93
	v_add_f16_e32 v96, v118, v101
	;; [unrolled: 1-line block ×3, first 2 shown]
	v_fmamk_f16 v100, v75, 0x3bf1, v92
	v_mul_f16_e32 v94, 0xb5ac, v94
	v_mul_f16_e32 v82, 0xb770, v82
	v_add_f16_e64 v142, v156, v142
	v_fma_f16 v156, v78, 0x3b15, -v161
	v_mul_f16_e64 v163, 0xbb7b, v87
	v_mul_f16_e64 v168, 0x3770, v84
	;; [unrolled: 1-line block ×3, first 2 shown]
	v_add_f16_e32 v93, v96, v93
	v_add_f16_e32 v96, v121, v102
	v_add_f16_e32 v99, v100, v99
	v_fmamk_f16 v100, v77, 0x3b7b, v94
	v_fmamk_f16 v101, v70, 0x3b15, v82
	v_mul_f16_e32 v84, 0xba95, v84
	v_add_f16_e32 v14, v14, v13
	v_add_f16_e32 v67, v67, v62
	v_add_f16_e64 v142, v156, v142
	v_fma_f16 v156, v80, 0xb5ac, -v163
	v_mul_f16_e64 v171, 0xb94e, v86
	v_add_f16_e64 v150, v164, v150
	v_fma_f16 v164, 0xb5ac, v95, v169
	v_add_f16_e64 v160, v162, v160
	v_fma_f16 v162, v95, 0xb5ac, -v169
	v_add_f16_e64 v146, v148, v146
	v_fma_f16 v148, v95, 0x3b15, -v155
	;; [unrolled: 2-line block ×3, first 2 shown]
	v_add_f16_e32 v110, v115, v110
	v_fma_f16 v115, v95, 0x388b, -v127
	v_add_f16_e32 v93, v96, v93
	v_mul_f16_e32 v95, 0xb9fd, v95
	v_add_f16_e32 v96, v100, v99
	v_add_f16_e32 v99, v13, v101
	v_fmamk_f16 v100, v71, 0x388b, v84
	v_mul_f16_e32 v86, 0xbbf1, v86
	v_add_f16_e32 v14, v23, v14
	v_add_f16_e32 v23, v69, v67
	v_add_f16_e64 v142, v156, v142
	v_fma_f16 v156, v70, 0xbbc4, -v166
	v_mul_f16_e64 v173, 0x3a95, v83
	v_fmamk_f16 v101, v79, 0x394e, v95
	v_add_f16_e32 v99, v100, v99
	v_fmamk_f16 v100, v74, 0x2fb7, v86
	v_mul_f16_e32 v83, 0xbb7b, v83
	v_add_f16_e32 v14, v24, v14
	v_add_f16_e32 v23, v65, v23
	v_add_f16_e64 v156, v13, v156
	v_fma_f16 v170, v71, 0x3b15, -v168
	v_add_f16_e32 v67, v101, v96
	v_add_f16_e32 v69, v100, v99
	v_fmamk_f16 v96, v76, 0xb5ac, v83
	v_mul_f16_e32 v24, 0xb94e, v85
	v_add_f16_e32 v14, v21, v14
	v_add_f16_e32 v21, v68, v23
	v_mul_f16_e64 v172, 0x3bf1, v81
	v_add_f16_e64 v156, v170, v156
	v_fma_f16 v170, v74, 0xb9fd, -v171
	v_add_f16_e32 v69, v96, v69
	v_fmamk_f16 v23, v78, 0xb9fd, v24
	v_mul_f16_e32 v68, 0xb3a8, v87
	v_add_f16_e32 v14, v22, v14
	v_add_f16_e32 v21, v64, v21
	v_add_f16_e64 v150, v164, v150
	v_fma_f16 v164, 0x2fb7, v88, v172
	v_add_f16_e64 v156, v170, v156
	v_fma_f16 v170, v76, 0x388b, -v173
	v_mul_f16_e64 v174, 0xbb7b, v85
	v_add_f16_e32 v22, v23, v69
	v_fmamk_f16 v23, v80, 0xbbc4, v68
	v_add_f16_e32 v14, v17, v14
	v_add_f16_e32 v17, v66, v21
	v_fmac_f16_e32 v122, 0x2fb7, v70
	v_fmac_f16_e64 v152, 0xb9fd, v70
	v_fmac_f16_e64 v138, 0xb5ac, v70
	v_add_f16_e64 v150, v164, v150
	v_add_f16_e64 v156, v170, v156
	v_fma_f16 v164, v78, 0xb5ac, -v174
	v_mul_f16_e64 v170, 0x3bf1, v87
	v_fmac_f16_e64 v166, 0xbbc4, v70
	v_fmac_f16_e32 v89, 0xb770, v73
	v_add_f16_e32 v21, v23, v22
	v_fma_f16 v22, v70, 0x3b15, -v82
	v_add_f16_e32 v14, v18, v14
	v_add_f16_e32 v17, v63, v17
	v_add_f16_e32 v122, v13, v122
	v_fmac_f16_e32 v126, 0xbbc4, v71
	v_add_f16_e64 v152, v13, v152
	v_fmac_f16_e64 v154, 0x2fb7, v71
	v_add_f16_e64 v138, v13, v138
	v_fmac_f16_e64 v128, 0xb9fd, v71
	v_add_f16_e64 v156, v164, v156
	v_fma_f16 v164, v80, 0x2fb7, -v170
	v_add_f16_e64 v165, v13, v166
	v_fmac_f16_e64 v168, 0x3b15, v71
	v_add_f16_e32 v18, v62, v89
	v_fmac_f16_e32 v91, 0xba95, v72
	v_add_f16_e32 v13, v13, v22
	v_fma_f16 v22, v71, 0x388b, -v84
	v_add_f16_e32 v14, v15, v14
	v_add_f16_e32 v15, v26, v17
	;; [unrolled: 1-line block ×3, first 2 shown]
	v_fmac_f16_e64 v129, 0xb5ac, v74
	v_add_f16_e64 v152, v154, v152
	v_fmac_f16_e64 v157, 0x388b, v74
	v_add_f16_e64 v128, v128, v138
	;; [unrolled: 2-line block ×3, first 2 shown]
	v_add_f16_e64 v164, v168, v165
	v_fmac_f16_e64 v171, 0xb9fd, v74
	v_add_f16_e32 v17, v91, v18
	v_fmac_f16_e32 v92, 0xbbf1, v75
	v_add_f16_e32 v13, v22, v13
	v_fma_f16 v18, v74, 0x2fb7, -v86
	v_add_f16_e32 v14, v16, v14
	v_add_f16_e32 v15, v61, v15
	v_add_f16_e64 v109, v129, v109
	v_fmac_f16_e64 v131, 0x3b15, v76
	v_add_f16_e64 v152, v157, v152
	v_fmac_f16_e64 v159, 0xbbc4, v76
	;; [unrolled: 2-line block ×4, first 2 shown]
	v_mul_f16_e32 v65, 0xbbc4, v88
	v_add_f16_e32 v16, v92, v17
	v_fmac_f16_e32 v94, 0xbb7b, v77
	v_add_f16_e32 v13, v18, v13
	v_fma_f16 v17, v76, 0xb5ac, -v83
	v_add_f16_e32 v14, v19, v14
	v_add_f16_e32 v15, v55, v15
	v_mul_f16_e32 v124, 0x3770, v81
	v_add_f16_e64 v104, v131, v109
	v_fmac_f16_e64 v133, 0x388b, v78
	v_add_f16_e64 v137, v159, v152
	v_fmac_f16_e64 v161, 0x3b15, v78
	;; [unrolled: 2-line block ×4, first 2 shown]
	v_fmamk_f16 v85, v81, 0x33a8, v65
	v_add_f16_e32 v16, v94, v16
	v_fmac_f16_e32 v95, 0xb94e, v79
	v_add_f16_e32 v13, v17, v13
	v_fma_f16 v17, v78, 0xb9fd, -v24
	v_add_f16_e32 v14, v20, v14
	v_add_f16_e32 v12, v12, v15
	;; [unrolled: 1-line block ×3, first 2 shown]
	v_fma_f16 v112, v88, 0xb9fd, -v130
	v_add_f16_e64 v104, v133, v104
	v_fmac_f16_e64 v135, 0xb9fd, v80
	v_sub_f16_e32 v103, v106, v124
	v_add_f16_e64 v146, v148, v146
	v_fma_f16 v148, v88, 0xb5ac, -v158
	v_add_f16_e64 v137, v161, v137
	v_fmac_f16_e64 v163, 0xb5ac, v80
	v_add_f16_e64 v132, v134, v132
	v_fma_f16 v134, v88, 0x388b, -v144
	v_add_f16_e64 v119, v147, v128
	v_fmac_f16_e64 v149, 0x388b, v80
	v_add_f16_e64 v160, v162, v160
	v_fma_f16 v162, v88, 0x2fb7, -v172
	v_add_f16_e64 v151, v174, v151
	v_fmac_f16_e64 v170, 0x2fb7, v80
	v_add_f16_e32 v64, v85, v67
	v_add_f16_e32 v15, v95, v16
	v_fmac_f16_e32 v65, 0xb3a8, v81
	v_add_f16_e32 v13, v17, v13
	v_fma_f16 v16, v80, 0xbbc4, -v68
	v_and_b32_e32 v17, 0xffff, v32
	v_add_f16_e32 v14, v33, v14
	v_add_f16_e32 v12, v34, v12
	v_add_f16_e32 v109, v112, v110
	v_add_f16_e64 v104, v135, v104
	v_add_f16_e32 v97, v103, v97
	v_add_f16_e64 v146, v148, v146
	v_add_f16_e64 v137, v163, v137
	;; [unrolled: 1-line block ×6, first 2 shown]
	v_add_f16_e32 v15, v65, v15
	v_add_f16_e32 v13, v16, v13
	v_lshl_add_u32 v16, v17, 2, v30
	v_pack_b32_f16 v17, v21, v64
	v_pack_b32_f16 v12, v14, v12
	;; [unrolled: 1-line block ×11, first 2 shown]
	v_perm_b32 v30, v25, v11, 0x5040100
	v_pack_b32_f16 v13, v13, v15
	ds_store_2addr_b32 v16, v12, v17 offset1:1
	ds_store_2addr_b32 v16, v14, v18 offset0:2 offset1:3
	ds_store_2addr_b32 v16, v20, v19 offset0:4 offset1:5
	;; [unrolled: 1-line block ×5, first 2 shown]
	ds_store_b32 v16, v13 offset:48
.LBB0_17:
	s_wait_alu 0xfffe
	s_or_b32 exec_lo, exec_lo, s1
	global_wb scope:SCOPE_SE
	s_wait_dscnt 0x0
	s_barrier_signal -1
	s_barrier_wait -1
	global_inv scope:SCOPE_SE
	ds_load_2addr_b32 v[12:13], v31 offset1:26
	ds_load_2addr_b32 v[14:15], v31 offset0:52 offset1:78
	ds_load_2addr_b32 v[16:17], v31 offset0:104 offset1:130
	;; [unrolled: 1-line block ×4, first 2 shown]
	ds_load_b32 v22, v31 offset:1040
	global_wb scope:SCOPE_SE
	s_wait_dscnt 0x0
	s_barrier_signal -1
	s_barrier_wait -1
	global_inv scope:SCOPE_SE
	v_lshrrev_b32_e32 v24, 16, v13
	v_lshrrev_b32_e32 v26, 16, v14
	;; [unrolled: 1-line block ×4, first 2 shown]
	v_mul_f16_e32 v64, v59, v13
	v_mul_f16_e32 v65, v60, v14
	;; [unrolled: 1-line block ×4, first 2 shown]
	v_lshrrev_b32_e32 v23, 16, v12
	v_lshrrev_b32_e32 v33, 16, v17
	v_mul_f16_e32 v66, v58, v15
	v_fma_f16 v24, v4, v24, -v64
	v_fma_f16 v26, v5, v26, -v65
	v_mul_f16_e32 v58, v58, v30
	v_fmac_f16_e32 v59, v4, v13
	v_fmac_f16_e32 v60, v5, v14
	v_mul_f16_e32 v4, v57, v32
	v_mul_f16_e32 v5, v57, v16
	v_lshrrev_b32_e32 v34, 16, v18
	v_fmac_f16_e32 v58, v6, v15
	v_mul_f16_e32 v13, v56, v33
	v_fmac_f16_e32 v4, v7, v16
	v_fma_f16 v5, v7, v32, -v5
	v_mul_f16_e32 v7, v56, v17
	v_add_f16_e32 v15, v12, v59
	v_add_f16_e32 v16, v23, v24
	v_fma_f16 v6, v6, v30, -v66
	v_mul_f16_e32 v14, v54, v34
	v_fmac_f16_e32 v13, v0, v17
	v_fma_f16 v0, v0, v33, -v7
	v_mul_f16_e32 v7, v54, v18
	v_add_f16_e32 v15, v15, v60
	v_add_f16_e32 v16, v16, v26
	v_fmac_f16_e32 v14, v1, v18
	v_lshrrev_b32_e32 v55, 16, v19
	v_fma_f16 v1, v1, v34, -v7
	v_add_f16_e32 v7, v15, v58
	v_add_f16_e32 v15, v16, v6
	v_lshrrev_b32_e32 v61, 16, v20
	v_lshrrev_b32_e32 v62, 16, v21
	v_mul_f16_e32 v17, v53, v55
	v_mul_f16_e32 v18, v53, v19
	v_add_f16_e32 v15, v15, v5
	v_mul_f16_e32 v16, v52, v61
	v_add_f16_e32 v7, v7, v4
	v_fmac_f16_e32 v17, v2, v19
	v_fma_f16 v2, v2, v55, -v18
	v_add_f16_e32 v15, v15, v0
	v_mul_f16_e32 v18, v52, v20
	v_mul_f16_e32 v19, v50, v62
	v_lshrrev_b32_e32 v63, 16, v22
	v_fmac_f16_e32 v16, v3, v20
	v_add_f16_e32 v15, v15, v1
	v_add_f16_e32 v7, v7, v13
	v_fma_f16 v3, v3, v61, -v18
	v_fmac_f16_e32 v19, v9, v21
	v_mul_f16_e32 v18, v51, v22
	v_mul_f16_e32 v21, v50, v21
	v_add_f16_e32 v15, v15, v2
	v_add_f16_e32 v7, v7, v14
	v_mul_f16_e32 v20, v51, v63
	v_fma_f16 v18, v10, v63, -v18
	v_fma_f16 v9, v9, v62, -v21
	v_add_f16_e32 v15, v15, v3
	v_add_f16_e32 v7, v7, v17
	v_fmac_f16_e32 v20, v10, v22
	v_sub_f16_e32 v10, v24, v18
	v_add_f16_e32 v22, v24, v18
	v_add_f16_e32 v15, v15, v9
	v_add_f16_e32 v7, v7, v16
	v_add_f16_e32 v21, v59, v20
	v_mul_f16_e32 v24, 0xb853, v10
	v_sub_f16_e32 v30, v59, v20
	v_mul_f16_e32 v32, 0x3abb, v22
	v_add_f16_e32 v15, v15, v18
	v_mul_f16_e32 v18, 0xbb47, v10
	v_mul_f16_e32 v50, 0x36a6, v22
	;; [unrolled: 1-line block ×8, first 2 shown]
	v_sub_f16_e32 v63, v26, v9
	v_add_f16_e32 v7, v7, v19
	v_fmamk_f16 v33, v21, 0x3abb, v24
	v_fma_f16 v24, v21, 0x3abb, -v24
	v_fmamk_f16 v34, v21, 0x36a6, v18
	v_fma_f16 v18, v21, 0x36a6, -v18
	;; [unrolled: 2-line block ×4, first 2 shown]
	v_fmamk_f16 v62, v21, 0xbbad, v10
	v_fmamk_f16 v64, v30, 0x3482, v22
	v_fma_f16 v10, v21, 0xbbad, -v10
	v_add_f16_e32 v9, v26, v9
	v_add_f16_e32 v21, v60, v19
	v_mul_f16_e32 v26, 0xbb47, v63
	v_add_f16_e32 v7, v7, v20
	v_fmamk_f16 v20, v30, 0x3853, v32
	v_add_f16_e32 v33, v12, v33
	v_fmac_f16_e32 v32, 0xb853, v30
	v_fmamk_f16 v52, v30, 0x3b47, v50
	v_fmac_f16_e32 v50, 0xbb47, v30
	v_fmamk_f16 v55, v30, 0x3beb, v53
	;; [unrolled: 2-line block ×3, first 2 shown]
	v_fmac_f16_e32 v57, 0xba0c, v30
	v_fmac_f16_e32 v22, 0xb482, v30
	v_sub_f16_e32 v19, v60, v19
	v_mul_f16_e32 v30, 0x36a6, v9
	v_add_f16_e32 v60, v23, v64
	v_fmamk_f16 v64, v21, 0x36a6, v26
	v_add_f16_e32 v20, v23, v20
	v_add_f16_e32 v24, v12, v24
	;; [unrolled: 1-line block ×18, first 2 shown]
	v_fmamk_f16 v22, v19, 0x3b47, v30
	v_mul_f16_e32 v23, 0xba0c, v63
	v_add_f16_e32 v33, v64, v33
	v_fma_f16 v26, v21, 0x36a6, -v26
	v_fmac_f16_e32 v30, 0xbb47, v19
	v_mul_f16_e32 v64, 0xb93d, v9
	v_add_f16_e32 v20, v22, v20
	v_fmamk_f16 v22, v21, 0xb93d, v23
	v_add_f16_e32 v24, v26, v24
	v_add_f16_e32 v26, v30, v32
	v_mul_f16_e32 v30, 0x3482, v63
	v_fmamk_f16 v32, v19, 0x3a0c, v64
	v_fma_f16 v23, v21, 0xb93d, -v23
	v_fmac_f16_e32 v64, 0xba0c, v19
	v_mul_f16_e32 v65, 0xbbad, v9
	v_add_f16_e32 v22, v22, v34
	v_fmamk_f16 v34, v21, 0xbbad, v30
	v_add_f16_e32 v32, v32, v52
	v_add_f16_e32 v18, v23, v18
	;; [unrolled: 1-line block ×3, first 2 shown]
	v_fmamk_f16 v50, v19, 0xb482, v65
	v_mul_f16_e32 v52, 0x3beb, v63
	v_add_f16_e32 v34, v34, v54
	v_fma_f16 v30, v21, 0xbbad, -v30
	v_mul_f16_e32 v54, 0xb08e, v9
	v_add_f16_e32 v50, v50, v55
	v_fmamk_f16 v55, v21, 0xb08e, v52
	v_mul_f16_e32 v63, 0x3853, v63
	v_fma_f16 v52, v21, 0xb08e, -v52
	v_add_f16_e32 v30, v30, v51
	v_fmamk_f16 v51, v19, 0xbbeb, v54
	v_add_f16_e32 v55, v55, v59
	v_fmac_f16_e32 v54, 0x3beb, v19
	v_fmamk_f16 v59, v21, 0x3abb, v63
	v_add_f16_e32 v52, v52, v56
	v_sub_f16_e32 v56, v6, v3
	v_add_f16_e32 v51, v51, v61
	v_mul_f16_e32 v9, 0x3abb, v9
	v_add_f16_e32 v54, v54, v57
	v_add_f16_e32 v57, v59, v62
	v_add_f16_e32 v61, v58, v16
	v_mul_f16_e32 v62, 0xbbeb, v56
	v_add_f16_e32 v3, v6, v3
	v_fmac_f16_e32 v65, 0x3482, v19
	v_fmamk_f16 v59, v19, 0xb853, v9
	v_fma_f16 v6, v21, 0x3abb, -v63
	v_fmac_f16_e32 v9, 0x3853, v19
	v_sub_f16_e32 v16, v58, v16
	v_fmamk_f16 v19, v61, 0xb08e, v62
	v_mul_f16_e32 v21, 0xb08e, v3
	v_add_f16_e32 v58, v59, v60
	v_add_f16_e32 v6, v6, v10
	;; [unrolled: 1-line block ×4, first 2 shown]
	v_fmamk_f16 v12, v16, 0x3beb, v21
	v_mul_f16_e32 v19, 0x3482, v56
	v_fma_f16 v33, v61, 0xb08e, -v62
	v_fmac_f16_e32 v21, 0xbbeb, v16
	v_mul_f16_e32 v59, 0xbbad, v3
	v_add_f16_e32 v12, v12, v20
	v_fmamk_f16 v20, v61, 0xbbad, v19
	v_add_f16_e32 v24, v33, v24
	v_add_f16_e32 v21, v21, v26
	v_fmamk_f16 v26, v16, 0xb482, v59
	v_mul_f16_e32 v33, 0x3b47, v56
	v_add_f16_e32 v20, v20, v22
	v_fma_f16 v19, v61, 0xbbad, -v19
	v_fmac_f16_e32 v59, 0x3482, v16
	v_add_f16_e32 v22, v26, v32
	v_fmamk_f16 v26, v61, 0x36a6, v33
	v_mul_f16_e32 v32, 0x36a6, v3
	v_add_f16_e32 v18, v19, v18
	v_add_f16_e32 v19, v59, v23
	v_mul_f16_e32 v23, 0xb853, v56
	v_add_f16_e32 v26, v26, v34
	v_fmamk_f16 v34, v16, 0xbb47, v32
	v_mul_f16_e32 v60, 0x3abb, v3
	v_add_f16_e32 v53, v65, v53
	v_fmamk_f16 v59, v61, 0x3abb, v23
	v_fma_f16 v23, v61, 0x3abb, -v23
	v_add_f16_e32 v34, v34, v50
	v_fmamk_f16 v50, v16, 0x3853, v60
	v_fmac_f16_e32 v60, 0xb853, v16
	v_fma_f16 v33, v61, 0x36a6, -v33
	v_fmac_f16_e32 v32, 0x3b47, v16
	v_mul_f16_e32 v3, 0xb93d, v3
	v_add_f16_e32 v23, v23, v52
	v_add_f16_e32 v52, v60, v54
	v_sub_f16_e32 v54, v5, v2
	v_add_f16_e32 v30, v33, v30
	v_add_f16_e32 v32, v32, v53
	;; [unrolled: 1-line block ×3, first 2 shown]
	v_mul_f16_e32 v53, 0xba0c, v56
	v_fmamk_f16 v55, v16, 0x3a0c, v3
	v_add_f16_e32 v56, v4, v17
	v_add_f16_e32 v2, v5, v2
	v_mul_f16_e32 v5, 0xba0c, v54
	v_fmac_f16_e32 v3, 0xba0c, v16
	v_add_f16_e32 v50, v50, v51
	v_fmamk_f16 v51, v61, 0xb93d, v53
	v_fma_f16 v53, v61, 0xb93d, -v53
	v_sub_f16_e32 v4, v4, v17
	v_mul_f16_e32 v16, 0xb93d, v2
	v_fmamk_f16 v17, v56, 0xb93d, v5
	v_add_f16_e32 v3, v3, v9
	v_mul_f16_e32 v9, 0x3beb, v54
	v_add_f16_e32 v6, v53, v6
	v_fmamk_f16 v53, v4, 0x3a0c, v16
	v_add_f16_e32 v10, v17, v10
	v_fma_f16 v5, v56, 0xb93d, -v5
	v_fmamk_f16 v17, v56, 0xb08e, v9
	v_fmac_f16_e32 v16, 0xba0c, v4
	v_add_f16_e32 v12, v53, v12
	v_mul_f16_e32 v53, 0xb08e, v2
	v_add_f16_e32 v51, v51, v57
	v_add_f16_e32 v17, v17, v20
	v_mul_f16_e32 v20, 0xb853, v54
	v_add_f16_e32 v5, v5, v24
	v_add_f16_e32 v16, v16, v21
	v_fmamk_f16 v21, v4, 0xbbeb, v53
	v_fma_f16 v9, v56, 0xb08e, -v9
	v_mul_f16_e32 v24, 0x3abb, v2
	v_fmamk_f16 v57, v56, 0x3abb, v20
	v_fmac_f16_e32 v53, 0x3beb, v4
	v_add_f16_e32 v21, v21, v22
	v_add_f16_e32 v18, v9, v18
	v_fmamk_f16 v9, v4, 0x3853, v24
	v_add_f16_e32 v22, v57, v26
	v_mul_f16_e32 v26, 0xb482, v54
	v_fma_f16 v20, v56, 0x3abb, -v20
	v_add_f16_e32 v19, v53, v19
	v_fmac_f16_e32 v24, 0xb853, v4
	v_add_f16_e32 v34, v9, v34
	v_mul_f16_e32 v9, 0xbbad, v2
	v_fmamk_f16 v53, v56, 0xbbad, v26
	v_add_f16_e32 v20, v20, v30
	v_mul_f16_e32 v30, 0x3b47, v54
	v_add_f16_e32 v24, v24, v32
	v_fmamk_f16 v32, v4, 0x3482, v9
	v_add_f16_e32 v33, v53, v33
	v_fma_f16 v26, v56, 0xbbad, -v26
	v_fmamk_f16 v53, v56, 0x36a6, v30
	v_fmac_f16_e32 v9, 0xb482, v4
	v_add_f16_e32 v32, v32, v50
	v_mul_f16_e32 v2, 0x36a6, v2
	v_add_f16_e32 v55, v55, v58
	v_add_f16_e32 v50, v53, v51
	v_sub_f16_e32 v51, v0, v1
	v_add_f16_e32 v23, v26, v23
	v_add_f16_e32 v26, v9, v52
	v_fmamk_f16 v9, v4, 0xbb47, v2
	v_add_f16_e32 v0, v0, v1
	v_add_f16_e32 v1, v13, v14
	v_mul_f16_e32 v52, 0xb482, v51
	v_fma_f16 v30, v56, 0x36a6, -v30
	v_fmac_f16_e32 v2, 0x3b47, v4
	v_sub_f16_e32 v4, v13, v14
	v_mul_f16_e32 v13, 0xbbad, v0
	v_add_f16_e32 v14, v9, v55
	v_fmamk_f16 v9, v1, 0xbbad, v52
	v_add_f16_e32 v6, v30, v6
	v_add_f16_e32 v2, v2, v3
	v_fmamk_f16 v3, v4, 0x3482, v13
	v_mul_f16_e32 v30, 0x3853, v51
	v_add_f16_e32 v53, v9, v10
	v_fma_f16 v9, v1, 0xbbad, -v52
	v_fmac_f16_e32 v13, 0xb482, v4
	v_mul_f16_e32 v52, 0x3abb, v0
	v_add_f16_e32 v3, v3, v12
	v_fmamk_f16 v12, v1, 0x3abb, v30
	v_add_f16_e32 v10, v9, v5
	v_mul_f16_e32 v5, 0xba0c, v51
	v_add_f16_e32 v9, v13, v16
	v_fmamk_f16 v13, v4, 0xb853, v52
	v_fma_f16 v16, v1, 0x3abb, -v30
	v_fmac_f16_e32 v52, 0x3853, v4
	v_mul_f16_e32 v30, 0xb93d, v0
	v_add_f16_e32 v12, v12, v17
	v_fmamk_f16 v17, v1, 0xb93d, v5
	v_add_f16_e32 v13, v13, v21
	v_add_f16_e32 v16, v16, v18
	;; [unrolled: 1-line block ×3, first 2 shown]
	v_fmamk_f16 v19, v4, 0x3a0c, v30
	v_mul_f16_e32 v21, 0x3b47, v51
	v_add_f16_e32 v17, v17, v22
	v_fma_f16 v5, v1, 0xb93d, -v5
	v_fmac_f16_e32 v30, 0xba0c, v4
	v_mul_f16_e32 v22, 0x36a6, v0
	v_add_f16_e32 v19, v19, v34
	v_fmamk_f16 v34, v1, 0x36a6, v21
	v_add_f16_e32 v5, v5, v20
	v_add_f16_e32 v20, v30, v24
	v_fmamk_f16 v24, v4, 0xbb47, v22
	v_mul_f16_e32 v0, 0xb08e, v0
	v_fma_f16 v21, v1, 0x36a6, -v21
	v_add_f16_e32 v30, v34, v33
	v_mul_f16_e32 v33, 0xbbeb, v51
	v_add_f16_e32 v24, v24, v32
	v_fmamk_f16 v32, v4, 0x3beb, v0
	v_fmac_f16_e32 v0, 0xbbeb, v4
	v_add_f16_e32 v21, v21, v23
	v_fmac_f16_e32 v22, 0x3b47, v4
	v_fmamk_f16 v23, v1, 0xb08e, v33
	v_fma_f16 v1, v1, 0xb08e, -v33
	v_add_f16_e32 v0, v0, v2
	v_pack_b32_f16 v2, v7, v15
	v_pack_b32_f16 v3, v53, v3
	v_add_f16_e32 v4, v22, v26
	v_add_f16_e32 v22, v23, v50
	;; [unrolled: 1-line block ×4, first 2 shown]
	ds_store_2addr_b32 v36, v2, v3 offset1:13
	v_pack_b32_f16 v2, v12, v13
	v_pack_b32_f16 v3, v17, v19
	;; [unrolled: 1-line block ×9, first 2 shown]
	ds_store_2addr_b32 v36, v2, v3 offset0:26 offset1:39
	ds_store_2addr_b32 v36, v6, v7 offset0:52 offset1:65
	ds_store_2addr_b32 v36, v0, v1 offset0:78 offset1:91
	ds_store_2addr_b32 v36, v4, v5 offset0:104 offset1:117
	ds_store_b32 v36, v12 offset:520
	global_wb scope:SCOPE_SE
	s_wait_dscnt 0x0
	s_barrier_signal -1
	s_barrier_wait -1
	global_inv scope:SCOPE_SE
	ds_load_2addr_b32 v[4:5], v31 offset1:26
	ds_load_2addr_b32 v[0:1], v31 offset0:104 offset1:143
	ds_load_2addr_b32 v[12:13], v31 offset0:169 offset1:195
	;; [unrolled: 1-line block ×4, first 2 shown]
	v_add_nc_u32_e32 v14, 0x1a0, v49
	s_and_saveexec_b32 s1, s0
	s_cbranch_execz .LBB0_19
; %bb.18:
	v_add_nc_u32_e32 v9, 0x200, v31
	ds_load_2addr_b32 v[10:11], v9 offset0:2 offset1:145
	s_wait_dscnt 0x0
	v_lshrrev_b32_e32 v9, 16, v10
	v_lshrrev_b32_e32 v25, 16, v11
.LBB0_19:
	s_wait_alu 0xfffe
	s_or_b32 exec_lo, exec_lo, s1
	s_wait_dscnt 0x3
	v_lshrrev_b32_e32 v16, 16, v1
	s_wait_dscnt 0x2
	v_lshrrev_b32_e32 v18, 16, v12
	v_mul_f16_e32 v24, v48, v1
	v_lshrrev_b32_e32 v20, 16, v13
	s_wait_dscnt 0x0
	v_lshrrev_b32_e32 v23, 16, v6
	v_mul_f16_e32 v22, v48, v16
	v_mul_f16_e32 v32, v46, v13
	v_fma_f16 v16, v41, v16, -v24
	v_mul_f16_e32 v24, v47, v12
	v_mul_f16_e32 v31, v46, v20
	v_fmac_f16_e32 v22, v41, v1
	v_mul_f16_e32 v1, v47, v18
	v_lshrrev_b32_e32 v30, 16, v7
	v_lshrrev_b32_e32 v15, 16, v4
	;; [unrolled: 1-line block ×3, first 2 shown]
	v_fma_f16 v18, v38, v18, -v24
	v_fmac_f16_e32 v1, v38, v12
	v_mul_f16_e32 v12, v45, v23
	v_fmac_f16_e32 v31, v42, v13
	v_fma_f16 v13, v42, v20, -v32
	v_mul_f16_e32 v20, v45, v6
	v_mul_f16_e32 v24, v44, v7
	v_fmac_f16_e32 v12, v39, v6
	v_mul_f16_e32 v6, v44, v30
	v_sub_f16_e32 v22, v4, v22
	v_sub_f16_e32 v16, v15, v16
	;; [unrolled: 1-line block ×4, first 2 shown]
	v_lshrrev_b32_e32 v19, 16, v2
	v_lshrrev_b32_e32 v21, 16, v3
	v_fma_f16 v20, v39, v23, -v20
	v_lshrrev_b32_e32 v26, 16, v0
	v_fmac_f16_e32 v6, v40, v7
	v_fma_f16 v7, v40, v30, -v24
	v_fma_f16 v4, v4, 2.0, -v22
	v_fma_f16 v15, v15, 2.0, -v16
	;; [unrolled: 1-line block ×4, first 2 shown]
	v_sub_f16_e32 v23, v2, v31
	v_sub_f16_e32 v13, v19, v13
	v_sub_f16_e32 v12, v3, v12
	v_sub_f16_e32 v20, v21, v20
	v_sub_f16_e32 v6, v0, v6
	v_sub_f16_e32 v7, v26, v7
	v_pack_b32_f16 v4, v4, v15
	v_pack_b32_f16 v5, v5, v17
	v_fma_f16 v2, v2, 2.0, -v23
	v_fma_f16 v19, v19, 2.0, -v13
	;; [unrolled: 1-line block ×6, first 2 shown]
	ds_store_2addr_b32 v35, v4, v5 offset1:26
	v_pack_b32_f16 v1, v1, v18
	v_pack_b32_f16 v4, v23, v13
	;; [unrolled: 1-line block ×8, first 2 shown]
	ds_store_2addr_b32 v35, v1, v4 offset0:169 offset1:195
	ds_store_2addr_b32 v35, v2, v3 offset0:52 offset1:78
	ds_store_b32 v35, v5 offset:884
	ds_store_2addr_b32 v35, v0, v16 offset0:104 offset1:143
	ds_store_b32 v14, v6 offset:572
	s_and_saveexec_b32 s1, s0
	s_cbranch_execz .LBB0_21
; %bb.20:
	v_mul_f16_e32 v0, v43, v25
	v_mul_f16_e32 v1, v43, v11
	s_delay_alu instid0(VALU_DEP_2) | instskip(NEXT) | instid1(VALU_DEP_2)
	v_fmac_f16_e32 v0, v37, v11
	v_fma_f16 v1, v37, v25, -v1
	s_delay_alu instid0(VALU_DEP_2) | instskip(NEXT) | instid1(VALU_DEP_2)
	v_sub_f16_e32 v0, v10, v0
	v_sub_f16_e32 v1, v9, v1
	s_delay_alu instid0(VALU_DEP_2) | instskip(NEXT) | instid1(VALU_DEP_2)
	v_fma_f16 v2, v10, 2.0, -v0
	v_fma_f16 v3, v9, 2.0, -v1
	v_pack_b32_f16 v0, v0, v1
	s_delay_alu instid0(VALU_DEP_2)
	v_pack_b32_f16 v1, v2, v3
	v_add_nc_u32_e32 v2, 0x200, v35
	ds_store_2addr_b32 v2, v1, v0 offset0:2 offset1:145
.LBB0_21:
	s_wait_alu 0xfffe
	s_or_b32 exec_lo, exec_lo, s1
	global_wb scope:SCOPE_SE
	s_wait_dscnt 0x0
	s_barrier_signal -1
	s_barrier_wait -1
	global_inv scope:SCOPE_SE
	s_and_b32 exec_lo, exec_lo, vcc_lo
	s_cbranch_execz .LBB0_23
; %bb.22:
	s_clause 0x6
	global_load_b32 v0, v27, s[20:21]
	global_load_b32 v1, v27, s[20:21] offset:88
	global_load_b32 v2, v27, s[20:21] offset:176
	;; [unrolled: 1-line block ×6, first 2 shown]
	v_mad_co_u64_u32 v[10:11], null, s6, v8, 0
	v_mad_co_u64_u32 v[12:13], null, s4, v28, 0
	ds_load_b32 v23, v35
	v_lshl_add_u32 v4, v29, 2, v27
	ds_load_2addr_b32 v[14:15], v4 offset0:22 offset1:44
	ds_load_2addr_b32 v[16:17], v4 offset0:66 offset1:88
	;; [unrolled: 1-line block ×3, first 2 shown]
	v_dual_mov_b32 v5, v11 :: v_dual_mov_b32 v6, v13
	s_mov_b32 s24, 0x55ee191
	s_mov_b32 s25, 0x3f6ca4b3
	s_mul_u64 s[22:23], s[4:5], 0x58
	s_delay_alu instid0(VALU_DEP_1)
	v_mad_co_u64_u32 v[20:21], null, s7, v8, v[5:6]
	v_mad_co_u64_u32 v[21:22], null, s5, v28, v[6:7]
	s_clause 0x3
	global_load_b32 v8, v27, s[20:21] offset:616
	global_load_b32 v6, v27, s[20:21] offset:704
	;; [unrolled: 1-line block ×4, first 2 shown]
	s_wait_dscnt 0x3
	v_lshrrev_b32_e32 v22, 16, v23
	v_mov_b32_e32 v11, v20
	v_mov_b32_e32 v13, v21
	s_wait_dscnt 0x2
	v_lshrrev_b32_e32 v20, 16, v14
	v_lshrrev_b32_e32 v24, 16, v15
	s_wait_dscnt 0x1
	v_lshrrev_b32_e32 v28, 16, v16
	v_lshrrev_b32_e32 v29, 16, v17
	;; [unrolled: 3-line block ×3, first 2 shown]
	s_wait_loadcnt 0xa
	v_lshrrev_b32_e32 v21, 16, v0
	s_wait_loadcnt 0x9
	v_lshrrev_b32_e32 v25, 16, v1
	s_wait_loadcnt 0x8
	v_lshrrev_b32_e32 v31, 16, v2
	s_wait_loadcnt 0x7
	v_lshrrev_b32_e32 v32, 16, v3
	s_wait_loadcnt 0x6
	v_lshrrev_b32_e32 v33, 16, v9
	v_mul_f16_e32 v35, v22, v21
	v_mul_f16_e32 v21, v23, v21
	;; [unrolled: 1-line block ×5, first 2 shown]
	v_fmac_f16_e32 v35, v23, v0
	v_fma_f16 v0, v0, v22, -v21
	v_fmac_f16_e32 v36, v14, v1
	v_fma_f16 v22, v1, v20, -v25
	v_mul_f16_e32 v23, v15, v31
	v_cvt_f32_f16_e32 v21, v35
	v_cvt_f32_f16_e32 v14, v0
	;; [unrolled: 1-line block ×3, first 2 shown]
	v_fmac_f16_e32 v37, v15, v2
	v_cvt_f32_f16_e32 v22, v22
	v_cvt_f64_f32_e32 v[0:1], v21
	v_cvt_f64_f32_e32 v[20:21], v14
	;; [unrolled: 1-line block ×3, first 2 shown]
	v_mul_f16_e32 v31, v28, v32
	v_cvt_f32_f16_e32 v25, v37
	v_fma_f16 v2, v2, v24, -v23
	v_cvt_f64_f32_e32 v[22:23], v22
	v_mul_f16_e32 v32, v16, v32
	v_fmac_f16_e32 v31, v16, v3
	v_cvt_f64_f32_e32 v[24:25], v25
	v_cvt_f32_f16_e32 v2, v2
	s_wait_loadcnt 0x5
	v_lshrrev_b32_e32 v34, 16, v26
	v_mul_f16_e32 v35, v29, v33
	v_cvt_f32_f16_e32 v16, v31
	v_fma_f16 v28, v3, v28, -v32
	v_cvt_f64_f32_e32 v[2:3], v2
	v_mul_f16_e32 v33, v17, v33
	v_mul_f16_e32 v36, v30, v34
	;; [unrolled: 1-line block ×3, first 2 shown]
	v_fmac_f16_e32 v35, v17, v9
	v_cvt_f64_f32_e32 v[16:17], v16
	v_cvt_f32_f16_e32 v28, v28
	s_wait_loadcnt 0x4
	v_lshrrev_b32_e32 v44, 16, v42
	v_fma_f16 v9, v9, v29, -v33
	v_fmac_f16_e32 v36, v18, v26
	v_fma_f16 v18, v26, v30, -v34
	v_cvt_f32_f16_e32 v26, v35
	v_cvt_f64_f32_e32 v[28:29], v28
	v_mul_f16_e32 v37, v43, v44
	v_cvt_f32_f16_e32 v32, v9
	v_lshlrev_b64_e32 v[9:10], 2, v[10:11]
	v_cvt_f64_f32_e32 v[30:31], v26
	v_cvt_f32_f16_e32 v18, v18
	v_fmac_f16_e32 v37, v19, v42
	v_cvt_f32_f16_e32 v34, v36
	v_cvt_f64_f32_e32 v[32:33], v32
	s_delay_alu instid0(VALU_DEP_3)
	v_cvt_f32_f16_e32 v38, v37
	v_mul_f64_e32 v[40:41], s[24:25], v[0:1]
	v_lshlrev_b64_e32 v[0:1], 2, v[12:13]
	v_mul_f64_e32 v[11:12], s[24:25], v[20:21]
	v_add_co_u32 v13, vcc_lo, s8, v9
	v_cvt_f64_f32_e32 v[36:37], v18
	s_wait_alu 0xfffd
	v_add_co_ci_u32_e32 v18, vcc_lo, s9, v10, vcc_lo
	v_mul_f64_e32 v[9:10], s[24:25], v[14:15]
	v_cvt_f64_f32_e32 v[34:35], v34
	v_mul_f64_e32 v[20:21], s[24:25], v[22:23]
	v_add_co_u32 v13, vcc_lo, v13, v0
	s_wait_alu 0xfffd
	v_add_co_ci_u32_e32 v14, vcc_lo, v18, v1, vcc_lo
	v_mul_f16_e32 v0, v19, v44
	v_mul_f64_e32 v[18:19], s[24:25], v[24:25]
	v_mul_f64_e32 v[24:25], s[24:25], v[2:3]
	v_add_co_u32 v22, vcc_lo, v13, s22
	v_mul_f64_e32 v[15:16], s[24:25], v[16:17]
	s_wait_alu 0xfffd
	v_add_co_ci_u32_e32 v23, vcc_lo, s23, v14, vcc_lo
	v_fma_f16 v0, v42, v43, -v0
	v_add_co_u32 v42, vcc_lo, v22, s22
	v_mul_f64_e32 v[28:29], s[24:25], v[28:29]
	s_wait_alu 0xfffd
	v_add_co_ci_u32_e32 v43, vcc_lo, s23, v23, vcc_lo
	s_delay_alu instid0(VALU_DEP_3) | instskip(SKIP_2) | instid1(VALU_DEP_3)
	v_add_co_u32 v44, vcc_lo, v42, s22
	v_mul_f64_e32 v[30:31], s[24:25], v[30:31]
	s_wait_alu 0xfffd
	v_add_co_ci_u32_e32 v45, vcc_lo, s23, v43, vcc_lo
	v_mul_f64_e32 v[32:33], s[24:25], v[32:33]
	v_cvt_f64_f32_e32 v[38:39], v38
	v_cvt_f32_f16_e32 v0, v0
	v_and_or_b32 v17, 0x1ff, v41, v40
	v_lshrrev_b32_e32 v26, 8, v41
	v_and_or_b32 v11, 0x1ff, v12, v11
	s_delay_alu instid0(VALU_DEP_4) | instskip(NEXT) | instid1(VALU_DEP_4)
	v_cvt_f64_f32_e32 v[46:47], v0
	v_cmp_ne_u32_e32 vcc_lo, 0, v17
	v_mul_f64_e32 v[2:3], s[24:25], v[36:37]
	v_bfe_u32 v36, v41, 20, 11
	v_and_or_b32 v9, 0x1ff, v10, v9
	v_mul_f64_e32 v[34:35], s[24:25], v[34:35]
	s_wait_alu 0xfffd
	v_cndmask_b32_e64 v17, 0, 1, vcc_lo
	v_cmp_ne_u32_e32 vcc_lo, 0, v11
	v_and_or_b32 v20, 0x1ff, v21, v20
	v_lshrrev_b32_e32 v37, 16, v41
	v_lshrrev_b32_e32 v40, 8, v10
	v_and_or_b32 v17, 0xffe, v26, v17
	s_wait_alu 0xfffd
	v_cndmask_b32_e64 v11, 0, 1, vcc_lo
	v_cmp_ne_u32_e32 vcc_lo, 0, v9
	v_and_or_b32 v18, 0x1ff, v19, v18
	v_and_or_b32 v24, 0x1ff, v25, v24
	;; [unrolled: 1-line block ×3, first 2 shown]
	v_bfe_u32 v41, v10, 20, 11
	s_wait_alu 0xfffd
	v_cndmask_b32_e64 v9, 0, 1, vcc_lo
	v_cmp_ne_u32_e32 vcc_lo, 0, v20
	v_bfe_u32 v49, v21, 20, 11
	v_sub_nc_u32_e32 v64, 0x3f1, v36
	v_and_or_b32 v28, 0x1ff, v29, v28
	v_add_nc_u32_e32 v36, 0xfffffc10, v36
	s_wait_alu 0xfffd
	v_cndmask_b32_e64 v20, 0, 1, vcc_lo
	v_cmp_ne_u32_e32 vcc_lo, 0, v18
	v_lshrrev_b32_e32 v48, 8, v21
	v_and_or_b32 v30, 0x1ff, v31, v30
	v_bfe_u32 v51, v19, 20, 11
	v_bfe_u32 v53, v25, 20, 11
	s_wait_alu 0xfffd
	v_cndmask_b32_e64 v18, 0, 1, vcc_lo
	v_cmp_ne_u32_e32 vcc_lo, 0, v24
	v_and_or_b32 v32, 0x1ff, v33, v32
	v_mul_f64_e32 v[0:1], s[24:25], v[38:39]
	v_lshrrev_b32_e32 v38, 8, v12
	v_bfe_u32 v39, v12, 20, 11
	s_wait_alu 0xfffd
	v_cndmask_b32_e64 v24, 0, 1, vcc_lo
	v_cmp_ne_u32_e32 vcc_lo, 0, v15
	v_sub_nc_u32_e32 v66, 0x3f1, v41
	v_and_or_b32 v11, 0xffe, v38, v11
	v_and_or_b32 v2, 0x1ff, v3, v2
	v_sub_nc_u32_e32 v65, 0x3f1, v39
	s_wait_alu 0xfffd
	v_cndmask_b32_e64 v15, 0, 1, vcc_lo
	v_cmp_ne_u32_e32 vcc_lo, 0, v28
	v_and_or_b32 v34, 0x1ff, v35, v34
	v_sub_nc_u32_e32 v67, 0x3f1, v49
	v_med3_i32 v26, v64, 0, 13
	v_med3_i32 v38, v65, 0, 13
	s_wait_alu 0xfffd
	v_cndmask_b32_e64 v28, 0, 1, vcc_lo
	v_cmp_ne_u32_e32 vcc_lo, 0, v30
	v_and_or_b32 v9, 0xffe, v40, v9
	v_or_b32_e32 v64, 0x1000, v17
	v_lshl_or_b32 v65, v36, 12, v17
	v_add_nc_u32_e32 v39, 0xfffffc10, v39
	s_wait_alu 0xfffd
	v_cndmask_b32_e64 v30, 0, 1, vcc_lo
	v_cmp_ne_u32_e32 vcc_lo, 0, v32
	v_lshrrev_b32_e32 v50, 8, v19
	v_lshrrev_b32_e32 v52, 8, v25
	v_bfe_u32 v55, v16, 20, 11
	v_bfe_u32 v57, v29, 20, 11
	s_wait_alu 0xfffd
	v_cndmask_b32_e64 v32, 0, 1, vcc_lo
	v_cmp_ne_u32_e32 vcc_lo, 0, v34
	v_sub_nc_u32_e32 v68, 0x3f1, v51
	v_sub_nc_u32_e32 v69, 0x3f1, v53
	v_med3_i32 v40, v66, 0, 13
	v_and_or_b32 v20, 0xffe, v48, v20
	s_wait_alu 0xfffd
	v_cndmask_b32_e64 v34, 0, 1, vcc_lo
	v_cmp_ne_u32_e32 vcc_lo, 0, v2
	v_med3_i32 v48, v67, 0, 13
	v_or_b32_e32 v66, 0x1000, v11
	v_lshl_or_b32 v67, v39, 12, v11
	v_add_nc_u32_e32 v41, 0xfffffc10, v41
	s_wait_alu 0xfffd
	v_cndmask_b32_e64 v2, 0, 1, vcc_lo
	v_cmp_ne_u32_e32 vcc_lo, 0, v17
	v_lshrrev_b32_e32 v54, 8, v16
	v_lshrrev_b32_e32 v56, 8, v29
	v_bfe_u32 v59, v31, 20, 11
	v_bfe_u32 v61, v33, 20, 11
	s_wait_alu 0xfffd
	v_cndmask_b32_e64 v17, 0, 1, vcc_lo
	v_cmp_ne_u32_e32 vcc_lo, 0, v11
	v_sub_nc_u32_e32 v70, 0x3f1, v55
	v_sub_nc_u32_e32 v71, 0x3f1, v57
	v_and_or_b32 v18, 0xffe, v50, v18
	v_med3_i32 v50, v68, 0, 13
	s_wait_alu 0xfffd
	v_cndmask_b32_e64 v11, 0, 1, vcc_lo
	v_cmp_ne_u32_e32 vcc_lo, 0, v9
	v_and_or_b32 v24, 0xffe, v52, v24
	v_med3_i32 v52, v69, 0, 13
	v_or_b32_e32 v68, 0x1000, v9
	v_lshl_or_b32 v69, v41, 12, v9
	v_add_nc_u32_e32 v49, 0xfffffc10, v49
	s_wait_alu 0xfffd
	v_cndmask_b32_e64 v9, 0, 1, vcc_lo
	v_cmp_ne_u32_e32 vcc_lo, 0, v20
	v_lshrrev_b32_e32 v58, 8, v31
	v_lshrrev_b32_e32 v60, 8, v33
	v_bfe_u32 v63, v35, 20, 11
	v_sub_nc_u32_e32 v72, 0x3f1, v59
	v_sub_nc_u32_e32 v73, 0x3f1, v61
	v_and_or_b32 v15, 0xffe, v54, v15
	v_med3_i32 v54, v70, 0, 13
	v_and_or_b32 v28, 0xffe, v56, v28
	v_med3_i32 v56, v71, 0, 13
	v_or_b32_e32 v70, 0x1000, v20
	v_lshl_or_b32 v71, v49, 12, v20
	v_add_nc_u32_e32 v51, 0xfffffc10, v51
	s_wait_alu 0xfffd
	v_cndmask_b32_e64 v20, 0, 1, vcc_lo
	v_cmp_ne_u32_e32 vcc_lo, 0, v18
	v_lshrrev_b32_e32 v62, 8, v35
	v_sub_nc_u32_e32 v74, 0x3f1, v63
	v_and_or_b32 v30, 0xffe, v58, v30
	v_med3_i32 v58, v72, 0, 13
	v_and_or_b32 v32, 0xffe, v60, v32
	v_med3_i32 v60, v73, 0, 13
	v_or_b32_e32 v72, 0x1000, v18
	v_lshl_or_b32 v73, v51, 12, v18
	v_add_nc_u32_e32 v53, 0xfffffc10, v53
	s_wait_alu 0xfffd
	v_cndmask_b32_e64 v18, 0, 1, vcc_lo
	v_cmp_ne_u32_e32 vcc_lo, 0, v24
	v_and_or_b32 v34, 0xffe, v62, v34
	v_med3_i32 v62, v74, 0, 13
	v_or_b32_e32 v74, 0x1000, v24
	v_lshl_or_b32 v75, v53, 12, v24
	v_add_nc_u32_e32 v55, 0xfffffc10, v55
	s_wait_alu 0xfffd
	v_cndmask_b32_e64 v24, 0, 1, vcc_lo
	v_cmp_ne_u32_e32 vcc_lo, 0, v15
	v_or_b32_e32 v76, 0x1000, v15
	v_or_b32_e32 v78, 0x1000, v28
	v_lshl_or_b32 v77, v55, 12, v15
	v_add_nc_u32_e32 v57, 0xfffffc10, v57
	s_wait_alu 0xfffd
	v_cndmask_b32_e64 v15, 0, 1, vcc_lo
	v_cmp_ne_u32_e32 vcc_lo, 0, v28
	v_lshrrev_b32_e32 v85, v26, v64
	v_or_b32_e32 v80, 0x1000, v30
	v_lshl_or_b32 v79, v57, 12, v28
	v_add_nc_u32_e32 v59, 0xfffffc10, v59
	s_wait_alu 0xfffd
	v_cndmask_b32_e64 v28, 0, 1, vcc_lo
	v_cmp_ne_u32_e32 vcc_lo, 0, v30
	v_lshrrev_b32_e32 v86, v38, v66
	v_lshlrev_b32_e32 v26, v26, v85
	v_lshl_or_b32 v81, v59, 12, v30
	v_add_nc_u32_e32 v61, 0xfffffc10, v61
	s_wait_alu 0xfffd
	v_cndmask_b32_e64 v30, 0, 1, vcc_lo
	v_cmp_ne_u32_e32 vcc_lo, 0, v32
	v_or_b32_e32 v82, 0x1000, v32
	v_lshrrev_b32_e32 v87, v40, v68
	v_lshl_or_b32 v83, v61, 12, v32
	v_lshl_or_b32 v9, v9, 9, 0x7c00
	s_wait_alu 0xfffd
	v_cndmask_b32_e64 v32, 0, 1, vcc_lo
	v_lshlrev_b32_e32 v38, v38, v86
	v_cmp_ne_u32_e32 vcc_lo, v26, v64
	v_lshl_or_b32 v17, v17, 9, 0x7c00
	v_lshrrev_b32_e32 v88, v48, v70
	v_lshlrev_b32_e32 v40, v40, v87
	v_lshl_or_b32 v11, v11, 9, 0x7c00
	s_wait_alu 0xfffd
	v_cndmask_b32_e64 v26, 0, 1, vcc_lo
	v_cmp_ne_u32_e32 vcc_lo, v38, v66
	v_lshrrev_b32_e32 v89, v50, v72
	v_lshlrev_b32_e32 v48, v48, v88
	v_lshrrev_b32_e32 v90, v52, v74
	v_lshrrev_b32_e32 v91, v54, v76
	s_wait_alu 0xfffd
	v_cndmask_b32_e64 v38, 0, 1, vcc_lo
	v_cmp_ne_u32_e32 vcc_lo, v40, v68
	v_lshlrev_b32_e32 v50, v50, v89
	v_lshl_or_b32 v15, v15, 9, 0x7c00
	v_lshlrev_b32_e32 v52, v52, v90
	v_lshrrev_b32_e32 v92, v56, v78
	s_wait_alu 0xfffd
	v_cndmask_b32_e64 v40, 0, 1, vcc_lo
	v_cmp_ne_u32_e32 vcc_lo, v48, v70
	v_lshlrev_b32_e32 v54, v54, v91
	v_lshrrev_b32_e32 v93, v58, v80
	v_lshlrev_b32_e32 v56, v56, v92
	v_or_b32_e32 v84, 0x1000, v34
	s_wait_alu 0xfffd
	v_cndmask_b32_e64 v48, 0, 1, vcc_lo
	v_cmp_ne_u32_e32 vcc_lo, v50, v72
	v_lshrrev_b32_e32 v94, v60, v82
	v_lshlrev_b32_e32 v58, v58, v93
	v_lshrrev_b32_e32 v95, v62, v84
	v_or_b32_e32 v26, v85, v26
	s_wait_alu 0xfffd
	v_cndmask_b32_e64 v50, 0, 1, vcc_lo
	v_cmp_ne_u32_e32 vcc_lo, v52, v74
	v_lshlrev_b32_e32 v60, v60, v94
	v_lshlrev_b32_e32 v62, v62, v95
	v_or_b32_e32 v38, v86, v38
	v_or_b32_e32 v40, v87, v40
	s_wait_alu 0xfffd
	v_cndmask_b32_e64 v52, 0, 1, vcc_lo
	v_cmp_ne_u32_e32 vcc_lo, v54, v76
	v_or_b32_e32 v48, v88, v48
	v_or_b32_e32 v50, v89, v50
	v_lshrrev_b32_e32 v10, 16, v10
	v_or_b32_e32 v52, v90, v52
	s_wait_alu 0xfffd
	v_cndmask_b32_e64 v54, 0, 1, vcc_lo
	v_cmp_ne_u32_e32 vcc_lo, v56, v78
	v_lshl_or_b32 v20, v20, 9, 0x7c00
	v_lshl_or_b32 v18, v18, 9, 0x7c00
	;; [unrolled: 1-line block ×3, first 2 shown]
	v_or_b32_e32 v54, v91, v54
	s_wait_alu 0xfffd
	v_cndmask_b32_e64 v56, 0, 1, vcc_lo
	v_cmp_ne_u32_e32 vcc_lo, v58, v80
	v_lshrrev_b32_e32 v12, 16, v12
	v_lshrrev_b32_e32 v16, 16, v16
	;; [unrolled: 1-line block ×3, first 2 shown]
	v_or_b32_e32 v56, v92, v56
	s_wait_alu 0xfffd
	v_cndmask_b32_e64 v58, 0, 1, vcc_lo
	v_cmp_ne_u32_e32 vcc_lo, v60, v82
	v_lshl_or_b32 v28, v28, 9, 0x7c00
	v_lshrrev_b32_e32 v19, 16, v19
	v_lshrrev_b32_e32 v29, 16, v29
	v_or_b32_e32 v58, v93, v58
	s_wait_alu 0xfffd
	v_cndmask_b32_e64 v60, 0, 1, vcc_lo
	v_cmp_ne_u32_e32 vcc_lo, v62, v84
	v_lshrrev_b32_e32 v25, 16, v25
	v_lshl_or_b32 v30, v30, 9, 0x7c00
	v_lshrrev_b32_e32 v31, 16, v31
	v_or_b32_e32 v60, v94, v60
	s_wait_alu 0xfffd
	v_cndmask_b32_e64 v62, 0, 1, vcc_lo
	v_cmp_gt_i32_e32 vcc_lo, 1, v36
	v_lshl_or_b32 v32, v32, 9, 0x7c00
	v_lshrrev_b32_e32 v33, 16, v33
	v_and_or_b32 v0, 0x1ff, v1, v0
	s_wait_alu 0xfffd
	v_cndmask_b32_e32 v26, v65, v26, vcc_lo
	v_cmp_gt_i32_e32 vcc_lo, 1, v39
	s_delay_alu instid0(VALU_DEP_2)
	v_and_b32_e32 v64, 7, v26
	s_wait_alu 0xfffd
	v_cndmask_b32_e32 v38, v67, v38, vcc_lo
	v_cmp_gt_i32_e32 vcc_lo, 1, v41
	v_lshrrev_b32_e32 v26, 2, v26
	v_cmp_eq_u32_e64 s0, 3, v64
	s_wait_alu 0xfffd
	v_dual_cndmask_b32 v40, v69, v40 :: v_dual_and_b32 v65, 7, v38
	v_cmp_gt_i32_e32 vcc_lo, 1, v49
	v_lshrrev_b32_e32 v38, 2, v38
	s_delay_alu instid0(VALU_DEP_3) | instskip(NEXT) | instid1(VALU_DEP_4)
	v_cmp_lt_i32_e64 s1, 5, v65
	v_and_b32_e32 v66, 7, v40
	s_wait_alu 0xfffd
	v_cndmask_b32_e32 v48, v71, v48, vcc_lo
	v_cmp_gt_i32_e32 vcc_lo, 1, v51
	v_cmp_eq_u32_e64 s2, 3, v65
	v_lshrrev_b32_e32 v40, 2, v40
	v_cmp_lt_i32_e64 s3, 5, v66
	v_cmp_eq_u32_e64 s4, 3, v66
	s_wait_alu 0xfffd
	v_cndmask_b32_e32 v50, v73, v50, vcc_lo
	v_cmp_gt_i32_e32 vcc_lo, 1, v53
	s_delay_alu instid0(VALU_DEP_2)
	v_and_b32_e32 v68, 7, v50
	s_wait_alu 0xfffd
	v_cndmask_b32_e32 v52, v75, v52, vcc_lo
	v_cmp_gt_i32_e32 vcc_lo, 1, v55
	v_lshrrev_b32_e32 v50, 2, v50
	v_cmp_lt_i32_e64 s7, 5, v68
	v_cmp_eq_u32_e64 s8, 3, v68
	s_wait_alu 0xfffd
	v_cndmask_b32_e32 v54, v77, v54, vcc_lo
	v_cmp_gt_i32_e32 vcc_lo, 1, v57
	s_delay_alu instid0(VALU_DEP_2)
	v_and_b32_e32 v70, 7, v54
	s_wait_alu 0xfffd
	v_cndmask_b32_e32 v56, v79, v56, vcc_lo
	v_cmp_gt_i32_e32 vcc_lo, 1, v59
	v_lshrrev_b32_e32 v54, 2, v54
	v_cmp_lt_i32_e64 s11, 5, v70
	v_cmp_eq_u32_e64 s12, 3, v70
	s_wait_alu 0xfffd
	v_cndmask_b32_e32 v58, v81, v58, vcc_lo
	v_cmp_gt_i32_e32 vcc_lo, 1, v61
	v_add_nc_u32_e32 v63, 0xfffffc10, v63
	s_delay_alu instid0(VALU_DEP_3)
	v_and_b32_e32 v72, 7, v58
	s_wait_alu 0xfffd
	v_cndmask_b32_e32 v60, v83, v60, vcc_lo
	v_cmp_lt_i32_e32 vcc_lo, 5, v64
	v_lshrrev_b32_e32 v58, 2, v58
	v_cmp_lt_i32_e64 s15, 5, v72
	v_cmp_eq_u32_e64 s16, 3, v72
	s_or_b32 vcc_lo, s0, vcc_lo
	s_wait_alu 0xfffe
	v_add_co_ci_u32_e32 v26, vcc_lo, 0, v26, vcc_lo
	v_and_b32_e32 v67, 7, v48
	s_or_b32 vcc_lo, s2, s1
	v_lshrrev_b32_e32 v48, 2, v48
	s_wait_alu 0xfffe
	v_add_co_ci_u32_e32 v38, vcc_lo, 0, v38, vcc_lo
	v_cmp_lt_i32_e64 s5, 5, v67
	v_cmp_eq_u32_e64 s6, 3, v67
	v_and_b32_e32 v69, 7, v52
	s_or_b32 vcc_lo, s4, s3
	v_lshrrev_b32_e32 v52, 2, v52
	s_wait_alu 0xfffe
	v_add_co_ci_u32_e32 v40, vcc_lo, 0, v40, vcc_lo
	s_or_b32 vcc_lo, s6, s5
	v_cmp_lt_i32_e64 s9, 5, v69
	v_cmp_eq_u32_e64 s10, 3, v69
	s_wait_alu 0xfffe
	v_add_co_ci_u32_e32 v48, vcc_lo, 0, v48, vcc_lo
	s_or_b32 vcc_lo, s8, s7
	s_wait_alu 0xfffe
	v_add_co_ci_u32_e32 v50, vcc_lo, 0, v50, vcc_lo
	v_and_b32_e32 v71, 7, v56
	s_or_b32 vcc_lo, s10, s9
	v_lshrrev_b32_e32 v56, 2, v56
	s_wait_alu 0xfffe
	v_add_co_ci_u32_e32 v52, vcc_lo, 0, v52, vcc_lo
	s_or_b32 vcc_lo, s12, s11
	v_cmp_lt_i32_e64 s13, 5, v71
	v_cmp_eq_u32_e64 s14, 3, v71
	s_wait_alu 0xfffe
	v_add_co_ci_u32_e32 v54, vcc_lo, 0, v54, vcc_lo
	v_and_b32_e32 v73, 7, v60
	v_lshrrev_b32_e32 v60, 2, v60
	s_or_b32 vcc_lo, s14, s13
	s_wait_alu 0xfffe
	v_add_co_ci_u32_e32 v56, vcc_lo, 0, v56, vcc_lo
	v_cmp_lt_i32_e64 s17, 5, v73
	v_cmp_eq_u32_e64 s18, 3, v73
	s_or_b32 vcc_lo, s16, s15
	s_wait_alu 0xfffe
	v_add_co_ci_u32_e32 v58, vcc_lo, 0, v58, vcc_lo
	s_delay_alu instid0(VALU_DEP_2)
	s_or_b32 vcc_lo, s18, s17
	s_wait_alu 0xfffe
	v_add_co_ci_u32_e32 v60, vcc_lo, 0, v60, vcc_lo
	v_cmp_gt_i32_e32 vcc_lo, 31, v36
	s_wait_alu 0xfffd
	v_cndmask_b32_e32 v26, 0x7c00, v26, vcc_lo
	v_cmp_gt_i32_e32 vcc_lo, 31, v39
	s_wait_alu 0xfffd
	v_cndmask_b32_e32 v38, 0x7c00, v38, vcc_lo
	v_cmp_gt_i32_e32 vcc_lo, 31, v41
	s_wait_alu 0xfffd
	v_cndmask_b32_e32 v40, 0x7c00, v40, vcc_lo
	v_cmp_gt_i32_e32 vcc_lo, 31, v49
	s_wait_alu 0xfffd
	v_cndmask_b32_e32 v48, 0x7c00, v48, vcc_lo
	v_cmp_gt_i32_e32 vcc_lo, 31, v51
	s_wait_alu 0xfffd
	v_cndmask_b32_e32 v50, 0x7c00, v50, vcc_lo
	v_cmp_gt_i32_e32 vcc_lo, 31, v53
	s_wait_alu 0xfffd
	v_cndmask_b32_e32 v52, 0x7c00, v52, vcc_lo
	v_cmp_gt_i32_e32 vcc_lo, 31, v55
	s_wait_alu 0xfffd
	v_cndmask_b32_e32 v54, 0x7c00, v54, vcc_lo
	v_cmp_gt_i32_e32 vcc_lo, 31, v57
	s_wait_alu 0xfffd
	v_cndmask_b32_e32 v56, 0x7c00, v56, vcc_lo
	v_cmp_gt_i32_e32 vcc_lo, 31, v59
	s_wait_alu 0xfffd
	v_cndmask_b32_e32 v58, 0x7c00, v58, vcc_lo
	v_cmp_gt_i32_e32 vcc_lo, 31, v61
	s_wait_alu 0xfffd
	v_cndmask_b32_e32 v60, 0x7c00, v60, vcc_lo
	v_cmp_eq_u32_e32 vcc_lo, 0x40f, v36
	s_wait_alu 0xfffd
	v_cndmask_b32_e32 v17, v26, v17, vcc_lo
	v_cmp_eq_u32_e32 vcc_lo, 0x40f, v39
	s_delay_alu instid0(VALU_DEP_2) | instskip(SKIP_3) | instid1(VALU_DEP_2)
	v_and_or_b32 v17, 0x8000, v37, v17
	s_wait_alu 0xfffd
	v_cndmask_b32_e32 v11, v38, v11, vcc_lo
	v_cmp_eq_u32_e32 vcc_lo, 0x40f, v41
	v_and_or_b32 v11, 0x8000, v12, v11
	s_wait_alu 0xfffd
	v_cndmask_b32_e32 v9, v40, v9, vcc_lo
	v_cmp_eq_u32_e32 vcc_lo, 0x40f, v49
	s_delay_alu instid0(VALU_DEP_2) | instskip(SKIP_3) | instid1(VALU_DEP_3)
	v_and_or_b32 v9, 0x8000, v10, v9
	s_wait_alu 0xfffd
	v_cndmask_b32_e32 v20, v48, v20, vcc_lo
	v_cmp_eq_u32_e32 vcc_lo, 0x40f, v51
	v_and_b32_e32 v9, 0xffff, v9
	s_delay_alu instid0(VALU_DEP_3)
	v_and_or_b32 v10, 0x8000, v21, v20
	s_wait_alu 0xfffd
	v_cndmask_b32_e32 v18, v50, v18, vcc_lo
	v_cmp_eq_u32_e32 vcc_lo, 0x40f, v53
	s_wait_loadcnt 0x3
	v_lshrrev_b32_e32 v21, 16, v8
	v_lshl_or_b32 v9, v10, 16, v9
	s_wait_alu 0xfffd
	v_cndmask_b32_e32 v24, v52, v24, vcc_lo
	v_cmp_eq_u32_e32 vcc_lo, 0x40f, v55
	s_wait_alu 0xfffd
	v_cndmask_b32_e32 v15, v54, v15, vcc_lo
	v_cmp_eq_u32_e32 vcc_lo, 0x40f, v57
	s_delay_alu instid0(VALU_DEP_2)
	v_and_or_b32 v15, 0x8000, v16, v15
	v_and_b32_e32 v16, 0xffff, v17
	s_wait_alu 0xfffd
	v_cndmask_b32_e32 v26, v56, v28, vcc_lo
	v_cmp_eq_u32_e32 vcc_lo, 0x40f, v59
	v_and_b32_e32 v15, 0xffff, v15
	v_lshl_or_b32 v11, v11, 16, v16
	v_and_or_b32 v12, 0x8000, v19, v18
	v_and_or_b32 v17, 0x8000, v29, v26
	s_clause 0x1
	global_store_b32 v[13:14], v11, off
	global_store_b32 v[22:23], v9, off
	v_lshrrev_b32_e32 v9, 8, v3
	s_wait_alu 0xfffd
	v_cndmask_b32_e32 v28, v58, v30, vcc_lo
	v_cmp_eq_u32_e32 vcc_lo, 0x40f, v61
	v_and_or_b32 v18, 0x8000, v25, v24
	v_and_b32_e32 v12, 0xffff, v12
	v_lshl_or_b32 v15, v17, 16, v15
	v_bfe_u32 v17, v3, 20, 11
	v_and_or_b32 v2, 0xffe, v9, v2
	ds_load_2addr_b32 v[9:10], v4 offset0:154 offset1:176
	s_wait_alu 0xfffd
	v_cndmask_b32_e32 v30, v60, v32, vcc_lo
	v_and_or_b32 v16, 0x8000, v31, v28
	v_lshl_or_b32 v12, v18, 16, v12
	v_or_b32_e32 v13, v95, v62
	v_lshl_or_b32 v14, v63, 12, v34
	v_sub_nc_u32_e32 v18, 0x3f1, v17
	v_cmp_gt_i32_e32 vcc_lo, 1, v63
	v_and_or_b32 v11, 0x8000, v33, v30
	v_and_b32_e32 v16, 0xffff, v16
	s_clause 0x1
	global_store_b32 v[42:43], v12, off
	global_store_b32 v[44:45], v15, off
	v_med3_i32 v18, v18, 0, 13
	s_wait_alu 0xfffd
	v_cndmask_b32_e32 v13, v14, v13, vcc_lo
	v_or_b32_e32 v14, 0x1000, v2
	v_lshl_or_b32 v19, v11, 16, v16
	v_add_co_u32 v11, vcc_lo, v44, s22
	s_delay_alu instid0(VALU_DEP_4) | instskip(NEXT) | instid1(VALU_DEP_4)
	v_and_b32_e32 v15, 7, v13
	v_lshrrev_b32_e32 v16, v18, v14
	s_wait_alu 0xfffd
	v_add_co_ci_u32_e32 v12, vcc_lo, s23, v45, vcc_lo
	s_wait_dscnt 0x0
	v_lshrrev_b32_e32 v20, 16, v9
	v_cmp_lt_i32_e32 vcc_lo, 5, v15
	v_lshlrev_b32_e32 v18, v18, v16
	v_cmp_eq_u32_e64 s0, 3, v15
	v_lshrrev_b32_e32 v15, 2, v13
	v_mul_f16_e32 v22, v20, v21
	v_add_nc_u32_e32 v17, 0xfffffc10, v17
	v_cmp_ne_u32_e64 s1, v18, v14
	v_mul_f64_e32 v[13:14], s[24:25], v[46:47]
	s_or_b32 vcc_lo, s0, vcc_lo
	v_fmac_f16_e32 v22, v9, v8
	s_wait_alu 0xfffe
	v_add_co_ci_u32_e32 v23, vcc_lo, 0, v15, vcc_lo
	v_cndmask_b32_e64 v18, 0, 1, s1
	v_cmp_ne_u32_e32 vcc_lo, 0, v0
	v_lshrrev_b32_e32 v15, 8, v1
	global_load_b32 v25, v27, s[20:21] offset:968
	v_lshl_or_b32 v24, v17, 12, v2
	v_or_b32_e32 v18, v16, v18
	s_wait_alu 0xfffd
	v_cndmask_b32_e64 v0, 0, 1, vcc_lo
	v_cvt_f32_f16_e32 v16, v22
	v_cmp_ne_u32_e32 vcc_lo, 0, v34
	v_bfe_u32 v22, v1, 20, 11
	global_store_b32 v[11:12], v19, off
	v_and_or_b32 v0, 0xffe, v15, v0
	v_cvt_f64_f32_e32 v[15:16], v16
	s_wait_alu 0xfffd
	v_cndmask_b32_e64 v28, 0, 1, vcc_lo
	v_cmp_gt_i32_e32 vcc_lo, 1, v17
	v_sub_nc_u32_e32 v26, 0x3f1, v22
	v_mul_f16_e32 v9, v9, v21
	v_add_nc_u32_e32 v22, 0xfffffc10, v22
	v_lshl_or_b32 v28, v28, 9, 0x7c00
	s_wait_alu 0xfffd
	v_cndmask_b32_e32 v18, v24, v18, vcc_lo
	v_cmp_gt_i32_e32 vcc_lo, 31, v63
	v_or_b32_e32 v24, 0x1000, v0
	v_med3_i32 v26, v26, 0, 13
	v_fma_f16 v8, v8, v20, -v9
	v_and_b32_e32 v29, 7, v18
	s_wait_alu 0xfffd
	v_cndmask_b32_e32 v23, 0x7c00, v23, vcc_lo
	v_cmp_eq_u32_e32 vcc_lo, 0x40f, v63
	v_lshrrev_b32_e32 v19, v26, v24
	v_lshrrev_b32_e32 v18, 2, v18
	v_cmp_eq_u32_e64 s0, 3, v29
	v_cvt_f32_f16_e32 v8, v8
	s_wait_alu 0xfffd
	v_cndmask_b32_e32 v23, v23, v28, vcc_lo
	v_cmp_lt_i32_e32 vcc_lo, 5, v29
	v_lshlrev_b32_e32 v26, v26, v19
	v_and_or_b32 v13, 0x1ff, v14, v13
	v_lshl_or_b32 v20, v22, 12, v0
	v_cvt_f64_f32_e32 v[8:9], v8
	s_or_b32 vcc_lo, s0, vcc_lo
	v_cmp_ne_u32_e64 s1, v26, v24
	s_wait_alu 0xfffe
	v_add_co_ci_u32_e32 v18, vcc_lo, 0, v18, vcc_lo
	v_cmp_ne_u32_e32 vcc_lo, 0, v13
	v_bfe_u32 v24, v14, 20, 11
	s_wait_alu 0xf1ff
	v_cndmask_b32_e64 v21, 0, 1, s1
	v_lshrrev_b32_e32 v3, 16, v3
	v_lshrrev_b32_e32 v28, 16, v35
	s_wait_alu 0xfffd
	v_cndmask_b32_e64 v13, 0, 1, vcc_lo
	v_cmp_ne_u32_e32 vcc_lo, 0, v2
	v_or_b32_e32 v19, v19, v21
	v_lshrrev_b32_e32 v21, 8, v14
	v_mul_f64_e32 v[15:16], s[24:25], v[15:16]
	v_cmp_eq_u32_e64 s1, 0x40f, v22
	s_wait_alu 0xfffd
	v_cndmask_b32_e64 v2, 0, 1, vcc_lo
	v_cmp_gt_i32_e32 vcc_lo, 1, v22
	v_and_or_b32 v13, 0xffe, v21, v13
	v_lshrrev_b32_e32 v1, 16, v1
	s_delay_alu instid0(VALU_DEP_4)
	v_lshl_or_b32 v2, v2, 9, 0x7c00
	s_wait_alu 0xfffd
	v_cndmask_b32_e32 v19, v20, v19, vcc_lo
	v_cmp_gt_i32_e32 vcc_lo, 31, v17
	v_sub_nc_u32_e32 v20, 0x3f1, v24
	v_or_b32_e32 v26, 0x1000, v13
	s_wait_alu 0xfffd
	v_dual_cndmask_b32 v18, 0x7c00, v18 :: v_dual_and_b32 v21, 7, v19
	v_cmp_eq_u32_e32 vcc_lo, 0x40f, v17
	v_med3_i32 v20, v20, 0, 13
	v_and_or_b32 v17, 0x8000, v28, v23
	s_delay_alu instid0(VALU_DEP_4)
	v_cmp_eq_u32_e64 s0, 3, v21
	s_wait_loadcnt 0x3
	v_lshrrev_b32_e32 v23, 16, v6
	s_wait_alu 0xfffd
	v_cndmask_b32_e32 v2, v18, v2, vcc_lo
	v_lshrrev_b32_e32 v18, v20, v26
	v_cmp_lt_i32_e32 vcc_lo, 5, v21
	v_and_b32_e32 v17, 0xffff, v17
	v_lshrrev_b32_e32 v21, 16, v10
	v_and_or_b32 v2, 0x8000, v3, v2
	v_lshrrev_b32_e32 v3, 2, v19
	v_lshlrev_b32_e32 v19, v20, v18
	s_or_b32 vcc_lo, s0, vcc_lo
	s_delay_alu instid0(VALU_DEP_3)
	v_lshl_or_b32 v20, v2, 16, v17
	s_wait_alu 0xfffe
	v_add_co_ci_u32_e32 v3, vcc_lo, 0, v3, vcc_lo
	v_cmp_ne_u32_e32 vcc_lo, v19, v26
	v_add_nc_u32_e32 v19, 0xfffffc10, v24
	s_wait_alu 0xfffd
	v_cndmask_b32_e64 v2, 0, 1, vcc_lo
	v_cmp_gt_i32_e32 vcc_lo, 31, v22
	v_bfe_u32 v24, v16, 20, 11
	s_delay_alu instid0(VALU_DEP_3)
	v_or_b32_e32 v18, v18, v2
	s_wait_alu 0xfffd
	v_cndmask_b32_e32 v17, 0x7c00, v3, vcc_lo
	v_cmp_ne_u32_e32 vcc_lo, 0, v0
	v_mul_f64_e32 v[2:3], s[24:25], v[8:9]
	v_lshl_or_b32 v8, v19, 12, v13
	v_and_or_b32 v9, 0x1ff, v16, v15
	v_mul_f16_e32 v15, v21, v23
	s_wait_alu 0xfffd
	v_cndmask_b32_e64 v0, 0, 1, vcc_lo
	v_cmp_gt_i32_e32 vcc_lo, 1, v19
	v_sub_nc_u32_e32 v29, 0x3f1, v24
	v_fmac_f16_e32 v15, v10, v6
	s_delay_alu instid0(VALU_DEP_4)
	v_lshl_or_b32 v0, v0, 9, 0x7c00
	s_wait_alu 0xfffd
	v_cndmask_b32_e32 v18, v8, v18, vcc_lo
	v_cmp_ne_u32_e32 vcc_lo, 0, v9
	v_lshrrev_b32_e32 v9, 8, v16
	v_cvt_f32_f16_e32 v15, v15
	v_cndmask_b32_e64 v0, v17, v0, s1
	v_and_b32_e32 v26, 7, v18
	s_wait_alu 0xfffd
	v_cndmask_b32_e64 v8, 0, 1, vcc_lo
	v_lshrrev_b32_e32 v17, 2, v18
	v_mul_f16_e32 v10, v10, v23
	v_and_or_b32 v22, 0x8000, v1, v0
	v_cmp_lt_i32_e32 vcc_lo, 5, v26
	v_and_or_b32 v28, 0xffe, v9, v8
	v_cvt_f64_f32_e32 v[8:9], v15
	v_cmp_eq_u32_e64 s0, 3, v26
	v_med3_i32 v26, v29, 0, 13
	v_fma_f16 v6, v6, v21, -v10
	v_or_b32_e32 v15, 0x1000, v28
	v_and_b32_e32 v22, 0xffff, v22
	s_or_b32 vcc_lo, s0, vcc_lo
	v_lshrrev_b32_e32 v16, 16, v16
	s_wait_alu 0xfffe
	v_add_co_ci_u32_e32 v17, vcc_lo, 0, v17, vcc_lo
	v_lshrrev_b32_e32 v18, v26, v15
	v_cmp_ne_u32_e32 vcc_lo, 0, v13
	v_cvt_f32_f16_e32 v6, v6
	s_delay_alu instid0(VALU_DEP_3)
	v_lshlrev_b32_e32 v0, v26, v18
	s_wait_alu 0xfffd
	v_cndmask_b32_e64 v13, 0, 1, vcc_lo
	v_cmp_gt_i32_e32 vcc_lo, 31, v19
	v_and_or_b32 v1, 0x1ff, v3, v2
	v_add_nc_u32_e32 v2, 0xfffffc10, v24
	v_bfe_u32 v23, v3, 20, 11
	v_lshl_or_b32 v13, v13, 9, 0x7c00
	s_wait_alu 0xfffd
	v_cndmask_b32_e32 v17, 0x7c00, v17, vcc_lo
	v_cmp_ne_u32_e32 vcc_lo, v0, v15
	v_lshrrev_b32_e32 v15, 8, v3
	v_lshl_or_b32 v10, v2, 12, v28
	s_wait_alu 0xfffd
	v_cndmask_b32_e64 v0, 0, 1, vcc_lo
	v_cmp_ne_u32_e32 vcc_lo, 0, v1
	s_delay_alu instid0(VALU_DEP_2) | instskip(SKIP_3) | instid1(VALU_DEP_2)
	v_or_b32_e32 v0, v18, v0
	s_wait_alu 0xfffd
	v_cndmask_b32_e64 v1, 0, 1, vcc_lo
	v_cmp_gt_i32_e32 vcc_lo, 1, v2
	v_and_or_b32 v15, 0xffe, v15, v1
	v_sub_nc_u32_e32 v1, 0x3f1, v23
	s_wait_alu 0xfffd
	v_cndmask_b32_e32 v21, v10, v0, vcc_lo
	v_cmp_eq_u32_e32 vcc_lo, 0x40f, v19
	v_or_b32_e32 v24, 0x1000, v15
	v_med3_i32 v26, v1, 0, 13
	v_mul_f64_e32 v[0:1], s[24:25], v[8:9]
	v_cvt_f64_f32_e32 v[8:9], v6
	s_wait_alu 0xfffd
	v_cndmask_b32_e32 v6, v17, v13, vcc_lo
	ds_load_2addr_b32 v[17:18], v4 offset0:198 offset1:220
	v_lshrrev_b32_e32 v19, v26, v24
	v_lshrrev_b32_e32 v13, 16, v14
	v_and_b32_e32 v14, 7, v21
	v_add_co_u32 v10, vcc_lo, v11, s22
	s_wait_alu 0xfffd
	v_add_co_ci_u32_e32 v11, vcc_lo, s23, v12, vcc_lo
	v_lshlrev_b32_e32 v12, v26, v19
	v_cmp_lt_i32_e32 vcc_lo, 5, v14
	v_cmp_eq_u32_e64 s0, 3, v14
	v_and_or_b32 v6, 0x8000, v13, v6
	v_lshrrev_b32_e32 v13, 2, v21
	v_cmp_ne_u32_e64 s1, v12, v24
	v_add_nc_u32_e32 v14, 0xfffffc10, v23
	s_or_b32 vcc_lo, s0, vcc_lo
	s_wait_loadcnt 0x2
	v_lshrrev_b32_e32 v23, 16, v5
	s_wait_alu 0xfffe
	v_add_co_ci_u32_e32 v13, vcc_lo, 0, v13, vcc_lo
	v_cndmask_b32_e64 v12, 0, 1, s1
	s_wait_dscnt 0x0
	v_lshrrev_b32_e32 v21, 16, v17
	v_cmp_ne_u32_e32 vcc_lo, 0, v28
	v_lshl_or_b32 v22, v6, 16, v22
	v_add_nc_u32_e32 v4, 0x200, v4
	v_or_b32_e32 v12, v19, v12
	v_lshl_or_b32 v19, v14, 12, v15
	s_wait_alu 0xfffd
	v_cndmask_b32_e64 v24, 0, 1, vcc_lo
	v_mul_f16_e32 v26, v21, v23
	v_cmp_gt_i32_e32 vcc_lo, 1, v14
	s_delay_alu instid0(VALU_DEP_2)
	v_fmac_f16_e32 v26, v17, v5
	s_wait_alu 0xfffd
	v_cndmask_b32_e32 v19, v19, v12, vcc_lo
	v_cmp_gt_i32_e32 vcc_lo, 31, v2
	v_and_or_b32 v0, 0x1ff, v1, v0
	v_mul_f64_e32 v[8:9], s[24:25], v[8:9]
	v_cvt_f32_f16_e32 v26, v26
	v_bfe_u32 v28, v1, 20, 11
	s_wait_alu 0xfffd
	v_cndmask_b32_e32 v12, 0x7c00, v13, vcc_lo
	v_lshl_or_b32 v13, v24, 9, 0x7c00
	v_cmp_eq_u32_e32 vcc_lo, 0x40f, v2
	v_and_b32_e32 v24, 7, v19
	v_cmp_ne_u32_e64 s0, 0, v0
	v_lshrrev_b32_e32 v19, 2, v19
	v_mul_f16_e32 v17, v17, v23
	s_wait_alu 0xfffd
	v_cndmask_b32_e32 v2, v12, v13, vcc_lo
	v_cvt_f64_f32_e32 v[12:13], v26
	v_cmp_lt_i32_e32 vcc_lo, 5, v24
	s_wait_alu 0xf1ff
	v_cndmask_b32_e64 v0, 0, 1, s0
	v_cmp_eq_u32_e64 s0, 3, v24
	v_lshrrev_b32_e32 v26, 8, v1
	v_sub_nc_u32_e32 v24, 0x3f1, v28
	v_and_or_b32 v16, 0x8000, v16, v2
	v_fma_f16 v5, v5, v21, -v17
	s_or_b32 vcc_lo, s0, vcc_lo
	v_and_or_b32 v0, 0xffe, v26, v0
	s_wait_alu 0xfffe
	v_add_co_ci_u32_e32 v19, vcc_lo, 0, v19, vcc_lo
	v_cmp_ne_u32_e32 vcc_lo, 0, v15
	v_med3_i32 v24, v24, 0, 13
	v_or_b32_e32 v26, 0x1000, v0
	v_cvt_f32_f16_e32 v5, v5
	v_lshrrev_b32_e32 v1, 16, v1
	s_wait_alu 0xfffd
	v_cndmask_b32_e64 v15, 0, 1, vcc_lo
	v_cmp_gt_i32_e32 vcc_lo, 31, v14
	v_lshrrev_b32_e32 v6, v24, v26
	s_delay_alu instid0(VALU_DEP_3)
	v_lshl_or_b32 v15, v15, 9, 0x7c00
	s_wait_alu 0xfffd
	v_cndmask_b32_e32 v19, 0x7c00, v19, vcc_lo
	v_cmp_eq_u32_e32 vcc_lo, 0x40f, v14
	v_and_or_b32 v8, 0x1ff, v9, v8
	v_lshrrev_b32_e32 v17, 8, v9
	s_wait_alu 0xfffd
	v_dual_cndmask_b32 v14, v19, v15 :: v_dual_lshlrev_b32 v19, v24, v6
	v_add_co_u32 v2, vcc_lo, v10, s22
	v_lshrrev_b32_e32 v15, 16, v3
	s_wait_alu 0xfffd
	v_add_co_ci_u32_e32 v3, vcc_lo, s23, v11, vcc_lo
	v_cmp_ne_u32_e32 vcc_lo, v19, v26
	v_add_nc_u32_e32 v19, 0xfffffc10, v28
	v_and_or_b32 v14, 0x8000, v15, v14
	v_and_b32_e32 v15, 0xffff, v16
	v_mul_f64_e32 v[12:13], s[24:25], v[12:13]
	s_wait_alu 0xfffd
	v_cndmask_b32_e64 v16, 0, 1, vcc_lo
	v_cmp_ne_u32_e32 vcc_lo, 0, v8
	v_bfe_u32 v21, v9, 20, 11
	global_store_b32 v[10:11], v20, off
	global_store_b32 v[2:3], v22, off
	v_lshl_or_b32 v14, v14, 16, v15
	v_or_b32_e32 v6, v6, v16
	s_wait_alu 0xfffd
	v_cndmask_b32_e64 v8, 0, 1, vcc_lo
	v_lshl_or_b32 v16, v19, 12, v0
	v_cmp_gt_i32_e32 vcc_lo, 1, v19
	s_wait_loadcnt 0x1
	v_lshrrev_b32_e32 v20, 16, v7
	v_lshrrev_b32_e32 v9, 16, v9
	v_and_or_b32 v8, 0xffe, v17, v8
	v_sub_nc_u32_e32 v17, 0x3f1, v21
	s_wait_alu 0xfffd
	v_cndmask_b32_e32 v16, v16, v6, vcc_lo
	v_cvt_f64_f32_e32 v[5:6], v5
	v_add_co_u32 v2, vcc_lo, v2, s22
	v_or_b32_e32 v23, 0x1000, v8
	v_med3_i32 v17, v17, 0, 13
	v_and_b32_e32 v10, 7, v16
	s_wait_alu 0xfffd
	v_add_co_ci_u32_e32 v3, vcc_lo, s23, v3, vcc_lo
	s_delay_alu instid0(VALU_DEP_3) | instskip(NEXT) | instid1(VALU_DEP_3)
	v_lshrrev_b32_e32 v11, v17, v23
	v_cmp_lt_i32_e32 vcc_lo, 5, v10
	v_cmp_eq_u32_e64 s0, 3, v10
	v_lshrrev_b32_e32 v10, 2, v16
	v_add_nc_u32_e32 v16, 0xfffffc10, v21
	v_lshlrev_b32_e32 v15, v17, v11
	v_lshrrev_b32_e32 v17, 16, v18
	s_or_b32 vcc_lo, s0, vcc_lo
	s_wait_alu 0xfffe
	v_add_co_ci_u32_e32 v22, vcc_lo, 0, v10, vcc_lo
	v_cmp_ne_u32_e64 s1, v15, v23
	v_mul_f16_e32 v21, v17, v20
	v_cmp_ne_u32_e32 vcc_lo, 0, v0
	v_and_or_b32 v12, 0x1ff, v13, v12
	v_lshrrev_b32_e32 v23, 8, v13
	s_wait_alu 0xf1ff
	v_cndmask_b32_e64 v15, 0, 1, s1
	v_fmac_f16_e32 v21, v18, v7
	s_wait_alu 0xfffd
	v_cndmask_b32_e64 v0, 0, 1, vcc_lo
	v_cmp_gt_i32_e32 vcc_lo, 1, v16
	v_cmp_eq_u32_e64 s1, 0x40f, v19
	v_or_b32_e32 v10, v11, v15
	v_lshl_or_b32 v11, v16, 12, v8
	v_cvt_f32_f16_e32 v15, v21
	v_lshl_or_b32 v0, v0, 9, 0x7c00
	s_wait_alu 0xfffd
	s_delay_alu instid0(VALU_DEP_3)
	v_cndmask_b32_e32 v21, v11, v10, vcc_lo
	v_cmp_ne_u32_e32 vcc_lo, 0, v12
	v_mul_f64_e32 v[5:6], s[24:25], v[5:6]
	v_cvt_f64_f32_e32 v[10:11], v15
	v_bfe_u32 v15, v13, 20, 11
	v_and_b32_e32 v24, 7, v21
	s_wait_alu 0xfffd
	v_cndmask_b32_e64 v12, 0, 1, vcc_lo
	v_cmp_gt_i32_e32 vcc_lo, 31, v19
	v_lshrrev_b32_e32 v19, 2, v21
	v_cmp_eq_u32_e64 s0, 3, v24
	s_delay_alu instid0(VALU_DEP_4)
	v_and_or_b32 v12, 0xffe, v23, v12
	v_sub_nc_u32_e32 v23, 0x3f1, v15
	s_wait_alu 0xfffd
	v_cndmask_b32_e32 v22, 0x7c00, v22, vcc_lo
	v_cmp_lt_i32_e32 vcc_lo, 5, v24
	v_add_nc_u32_e32 v15, 0xfffffc10, v15
	v_or_b32_e32 v24, 0x1000, v12
	v_med3_i32 v23, v23, 0, 13
	s_wait_alu 0xf1ff
	v_cndmask_b32_e64 v0, v22, v0, s1
	s_or_b32 vcc_lo, s0, vcc_lo
	s_wait_alu 0xfffe
	v_add_co_ci_u32_e32 v19, vcc_lo, 0, v19, vcc_lo
	v_lshrrev_b32_e32 v21, v23, v24
	v_cmp_ne_u32_e32 vcc_lo, 0, v8
	v_and_or_b32 v22, 0x8000, v1, v0
	s_delay_alu instid0(VALU_DEP_3) | instskip(SKIP_3) | instid1(VALU_DEP_2)
	v_lshlrev_b32_e32 v0, v23, v21
	s_wait_alu 0xfffd
	v_cndmask_b32_e64 v8, 0, 1, vcc_lo
	v_cmp_gt_i32_e32 vcc_lo, 31, v16
	v_lshl_or_b32 v8, v8, 9, 0x7c00
	s_wait_alu 0xfffd
	v_cndmask_b32_e32 v1, 0x7c00, v19, vcc_lo
	v_cmp_ne_u32_e32 vcc_lo, v0, v24
	v_and_or_b32 v5, 0x1ff, v6, v5
	s_wait_alu 0xfffd
	v_cndmask_b32_e64 v19, 0, 1, vcc_lo
	v_cmp_eq_u32_e32 vcc_lo, 0x40f, v16
	v_mul_f16_e32 v16, v18, v20
	v_lshl_or_b32 v18, v15, 12, v12
	v_mul_f64_e32 v[10:11], s[24:25], v[10:11]
	s_wait_loadcnt 0x0
	v_lshrrev_b32_e32 v20, 16, v25
	s_wait_alu 0xfffd
	v_cndmask_b32_e32 v8, v1, v8, vcc_lo
	ds_load_2addr_b32 v[0:1], v4 offset0:114 offset1:136
	v_or_b32_e32 v4, v21, v19
	v_cmp_gt_i32_e32 vcc_lo, 1, v15
	v_fma_f16 v7, v7, v17, -v16
	v_bfe_u32 v17, v6, 20, 11
	v_and_or_b32 v8, 0x8000, v9, v8
	s_wait_alu 0xfffd
	v_dual_cndmask_b32 v16, v18, v4 :: v_dual_and_b32 v21, 0xffff, v22
	v_cmp_ne_u32_e32 vcc_lo, 0, v5
	v_lshrrev_b32_e32 v5, 8, v6
	v_cvt_f32_f16_e32 v7, v7
	s_delay_alu instid0(VALU_DEP_4)
	v_lshl_or_b32 v21, v8, 16, v21
	v_and_b32_e32 v9, 7, v16
	s_wait_alu 0xfffd
	v_cndmask_b32_e64 v4, 0, 1, vcc_lo
	v_lshrrev_b32_e32 v8, 2, v16
	v_lshrrev_b32_e32 v6, 16, v6
	v_cmp_lt_i32_e32 vcc_lo, 5, v9
	s_delay_alu instid0(VALU_DEP_4)
	v_and_or_b32 v18, 0xffe, v5, v4
	v_cvt_f64_f32_e32 v[4:5], v7
	v_sub_nc_u32_e32 v7, 0x3f1, v17
	s_wait_dscnt 0x0
	v_lshrrev_b32_e32 v19, 16, v0
	v_cmp_eq_u32_e64 s0, 3, v9
	v_or_b32_e32 v22, 0x1000, v18
	v_add_nc_u32_e32 v17, 0xfffffc10, v17
	v_med3_i32 v7, v7, 0, 13
	v_mul_f16_e32 v23, v19, v20
	s_or_b32 vcc_lo, s0, vcc_lo
	s_wait_alu 0xfffe
	v_add_co_ci_u32_e32 v8, vcc_lo, 0, v8, vcc_lo
	v_lshrrev_b32_e32 v9, v7, v22
	v_fmac_f16_e32 v23, v0, v25
	v_cmp_ne_u32_e32 vcc_lo, 0, v12
	v_mul_f16_e32 v0, v0, v20
	v_and_or_b32 v10, 0x1ff, v11, v10
	v_lshlrev_b32_e32 v16, v7, v9
	v_cvt_f32_f16_e32 v7, v23
	s_wait_alu 0xfffd
	v_cndmask_b32_e64 v12, 0, 1, vcc_lo
	v_cmp_gt_i32_e32 vcc_lo, 31, v15
	v_lshrrev_b32_e32 v20, 8, v11
	v_fma_f16 v0, v25, v19, -v0
	v_lshl_or_b32 v19, v17, 12, v18
	v_lshl_or_b32 v12, v12, 9, 0x7c00
	s_wait_alu 0xfffd
	v_cndmask_b32_e32 v23, 0x7c00, v8, vcc_lo
	v_cvt_f64_f32_e32 v[7:8], v7
	v_cmp_ne_u32_e32 vcc_lo, v16, v22
	v_cvt_f32_f16_e32 v0, v0
	s_wait_alu 0xfffd
	v_cndmask_b32_e64 v16, 0, 1, vcc_lo
	v_cmp_ne_u32_e32 vcc_lo, 0, v10
	s_delay_alu instid0(VALU_DEP_2)
	v_or_b32_e32 v9, v9, v16
	s_wait_alu 0xfffd
	v_cndmask_b32_e64 v10, 0, 1, vcc_lo
	v_bfe_u32 v16, v11, 20, 11
	v_cmp_gt_i32_e32 vcc_lo, 1, v17
	v_mul_f64_e32 v[4:5], s[24:25], v[4:5]
	v_lshrrev_b32_e32 v11, 16, v11
	v_and_or_b32 v20, 0xffe, v20, v10
	v_sub_nc_u32_e32 v10, 0x3f1, v16
	s_wait_alu 0xfffd
	v_cndmask_b32_e32 v19, v19, v9, vcc_lo
	v_cmp_eq_u32_e32 vcc_lo, 0x40f, v15
	v_lshrrev_b32_e32 v15, 16, v13
	v_or_b32_e32 v22, 0x1000, v20
	v_med3_i32 v24, v10, 0, 13
	v_cvt_f64_f32_e32 v[9:10], v0
	s_wait_alu 0xfffd
	v_dual_cndmask_b32 v0, v23, v12 :: v_dual_and_b32 v23, 7, v19
	v_add_co_u32 v12, vcc_lo, v2, s22
	v_lshrrev_b32_e32 v25, v24, v22
	s_wait_alu 0xfffd
	v_add_co_ci_u32_e32 v13, vcc_lo, s23, v3, vcc_lo
	v_cmp_lt_i32_e32 vcc_lo, 5, v23
	v_cmp_eq_u32_e64 s0, 3, v23
	v_and_or_b32 v0, 0x8000, v15, v0
	v_lshrrev_b32_e32 v15, 2, v19
	v_lshlrev_b32_e32 v24, v24, v25
	v_add_nc_u32_e32 v16, 0xfffffc10, v16
	s_or_b32 vcc_lo, s0, vcc_lo
	v_mul_f64_e32 v[7:8], s[24:25], v[7:8]
	s_wait_alu 0xfffe
	v_add_co_ci_u32_e32 v15, vcc_lo, 0, v15, vcc_lo
	v_cmp_ne_u32_e64 s1, v24, v22
	v_cmp_ne_u32_e32 vcc_lo, 0, v18
	v_lshl_or_b32 v22, v16, 12, v20
	v_and_b32_e32 v0, 0xffff, v0
	s_wait_alu 0xf1ff
	v_cndmask_b32_e64 v19, 0, 1, s1
	s_wait_alu 0xfffd
	v_cndmask_b32_e64 v18, 0, 1, vcc_lo
	v_cmp_gt_i32_e32 vcc_lo, 31, v17
	s_delay_alu instid0(VALU_DEP_3) | instskip(NEXT) | instid1(VALU_DEP_3)
	v_or_b32_e32 v19, v25, v19
	v_lshl_or_b32 v18, v18, 9, 0x7c00
	s_wait_alu 0xfffd
	v_cndmask_b32_e32 v15, 0x7c00, v15, vcc_lo
	v_cmp_gt_i32_e32 vcc_lo, 1, v16
	v_and_or_b32 v4, 0x1ff, v5, v4
	s_wait_alu 0xfffd
	v_cndmask_b32_e32 v19, v22, v19, vcc_lo
	v_cmp_eq_u32_e32 vcc_lo, 0x40f, v17
	v_mul_f64_e32 v[9:10], s[24:25], v[9:10]
	v_bfe_u32 v22, v5, 20, 11
	s_delay_alu instid0(VALU_DEP_4)
	v_and_b32_e32 v17, 7, v19
	s_wait_alu 0xfffd
	v_cndmask_b32_e32 v15, v15, v18, vcc_lo
	v_cmp_ne_u32_e32 vcc_lo, 0, v4
	v_lshrrev_b32_e32 v18, 8, v5
	v_lshrrev_b32_e32 v5, 16, v5
	v_cmp_eq_u32_e64 s0, 3, v17
	v_and_or_b32 v6, 0x8000, v6, v15
	s_wait_alu 0xfffd
	v_cndmask_b32_e64 v4, 0, 1, vcc_lo
	v_cmp_lt_i32_e32 vcc_lo, 5, v17
	v_sub_nc_u32_e32 v15, 0x3f1, v22
	v_lshl_or_b32 v0, v6, 16, v0
	v_lshrrev_b32_e32 v6, 2, v19
	v_and_or_b32 v4, 0xffe, v18, v4
	s_or_b32 vcc_lo, s0, vcc_lo
	v_med3_i32 v15, v15, 0, 13
	v_and_or_b32 v7, 0x1ff, v8, v7
	s_wait_alu 0xfffe
	v_add_co_ci_u32_e32 v6, vcc_lo, 0, v6, vcc_lo
	v_or_b32_e32 v17, 0x1000, v4
	v_cmp_ne_u32_e32 vcc_lo, 0, v20
	v_lshrrev_b32_e32 v20, 8, v8
	v_bfe_u32 v23, v8, 20, 11
	v_lshrrev_b32_e32 v8, 16, v8
	v_lshrrev_b32_e32 v19, v15, v17
	s_wait_alu 0xfffd
	v_cndmask_b32_e64 v18, 0, 1, vcc_lo
	v_cmp_gt_i32_e32 vcc_lo, 31, v16
	s_delay_alu instid0(VALU_DEP_3) | instskip(NEXT) | instid1(VALU_DEP_3)
	v_lshlrev_b32_e32 v15, v15, v19
	v_lshl_or_b32 v18, v18, 9, 0x7c00
	s_wait_alu 0xfffd
	v_cndmask_b32_e32 v6, 0x7c00, v6, vcc_lo
	v_cmp_ne_u32_e32 vcc_lo, 0, v7
	v_and_or_b32 v9, 0x1ff, v10, v9
	s_wait_alu 0xfffd
	v_cndmask_b32_e64 v7, 0, 1, vcc_lo
	v_cmp_ne_u32_e32 vcc_lo, v15, v17
	v_add_nc_u32_e32 v17, 0xfffffc10, v22
	v_bfe_u32 v22, v10, 20, 11
	s_delay_alu instid0(VALU_DEP_4)
	v_and_or_b32 v7, 0xffe, v20, v7
	s_wait_alu 0xfffd
	v_cndmask_b32_e64 v15, 0, 1, vcc_lo
	v_sub_nc_u32_e32 v20, 0x3f1, v23
	v_cmp_eq_u32_e32 vcc_lo, 0x40f, v16
	v_lshl_or_b32 v16, v17, 12, v4
	s_delay_alu instid0(VALU_DEP_4) | instskip(NEXT) | instid1(VALU_DEP_4)
	v_or_b32_e32 v15, v19, v15
	v_med3_i32 v19, v20, 0, 13
	s_wait_alu 0xfffd
	v_cndmask_b32_e32 v6, v6, v18, vcc_lo
	v_or_b32_e32 v18, 0x1000, v7
	v_cmp_gt_i32_e32 vcc_lo, 1, v17
	v_lshrrev_b32_e32 v20, 8, v10
	s_delay_alu instid0(VALU_DEP_4)
	v_and_or_b32 v6, 0x8000, v11, v6
	v_sub_nc_u32_e32 v11, 0x3f1, v22
	s_wait_alu 0xfffd
	v_cndmask_b32_e32 v15, v16, v15, vcc_lo
	v_lshrrev_b32_e32 v16, v19, v18
	v_cmp_ne_u32_e32 vcc_lo, 0, v9
	v_and_b32_e32 v6, 0xffff, v6
	v_med3_i32 v11, v11, 0, 13
	v_and_b32_e32 v24, 7, v15
	v_lshlrev_b32_e32 v19, v19, v16
	s_wait_alu 0xfffd
	v_cndmask_b32_e64 v9, 0, 1, vcc_lo
	v_lshrrev_b32_e32 v15, 2, v15
	v_cmp_lt_i32_e32 vcc_lo, 5, v24
	v_cmp_ne_u32_e64 s0, v19, v18
	s_delay_alu instid0(VALU_DEP_4) | instskip(SKIP_2) | instid1(VALU_DEP_3)
	v_and_or_b32 v9, 0xffe, v20, v9
	v_add_nc_u32_e32 v20, 0xfffffc10, v23
	s_wait_alu 0xf1ff
	v_cndmask_b32_e64 v18, 0, 1, s0
	v_cmp_eq_u32_e64 s0, 3, v24
	v_or_b32_e32 v19, 0x1000, v9
	v_lshl_or_b32 v23, v20, 12, v7
	s_delay_alu instid0(VALU_DEP_4) | instskip(NEXT) | instid1(VALU_DEP_4)
	v_or_b32_e32 v16, v16, v18
	s_or_b32 vcc_lo, s0, vcc_lo
	s_delay_alu instid0(VALU_DEP_3) | instskip(SKIP_3) | instid1(VALU_DEP_3)
	v_lshrrev_b32_e32 v18, v11, v19
	s_wait_alu 0xfffe
	v_add_co_ci_u32_e32 v15, vcc_lo, 0, v15, vcc_lo
	v_cmp_gt_i32_e32 vcc_lo, 1, v20
	v_lshlrev_b32_e32 v11, v11, v18
	s_wait_alu 0xfffd
	v_cndmask_b32_e32 v16, v23, v16, vcc_lo
	v_cmp_ne_u32_e32 vcc_lo, 0, v4
	s_wait_alu 0xfffd
	v_cndmask_b32_e64 v4, 0, 1, vcc_lo
	v_cmp_ne_u32_e32 vcc_lo, v11, v19
	v_add_nc_u32_e32 v19, 0xfffffc10, v22
	v_and_b32_e32 v22, 7, v16
	s_delay_alu instid0(VALU_DEP_4)
	v_lshl_or_b32 v4, v4, 9, 0x7c00
	s_wait_alu 0xfffd
	v_cndmask_b32_e64 v11, 0, 1, vcc_lo
	v_cmp_gt_i32_e32 vcc_lo, 31, v17
	v_cmp_gt_i32_e64 s1, 1, v19
	v_cmp_eq_u32_e64 s0, 3, v22
	s_delay_alu instid0(VALU_DEP_4)
	v_or_b32_e32 v11, v18, v11
	v_lshl_or_b32 v18, v19, 12, v9
	s_wait_alu 0xfffd
	v_cndmask_b32_e32 v15, 0x7c00, v15, vcc_lo
	v_cmp_lt_i32_e32 vcc_lo, 5, v22
	s_wait_alu 0xf1ff
	v_cndmask_b32_e64 v11, v18, v11, s1
	v_cmp_eq_u32_e64 s1, 0x40f, v17
	s_or_b32 vcc_lo, s0, vcc_lo
	s_delay_alu instid0(VALU_DEP_1)
	v_cndmask_b32_e64 v4, v15, v4, s1
	v_lshrrev_b32_e32 v15, 2, v16
	v_and_b32_e32 v16, 7, v11
	v_lshrrev_b32_e32 v11, 2, v11
	v_cmp_gt_i32_e64 s1, 31, v20
	s_wait_alu 0xfffe
	v_add_co_ci_u32_e32 v15, vcc_lo, 0, v15, vcc_lo
	v_cmp_ne_u32_e32 vcc_lo, 0, v7
	v_cmp_eq_u32_e64 s0, 3, v16
	s_wait_alu 0xf1ff
	s_delay_alu instid0(VALU_DEP_3) | instskip(SKIP_3) | instid1(VALU_DEP_2)
	v_cndmask_b32_e64 v15, 0x7c00, v15, s1
	s_wait_alu 0xfffd
	v_cndmask_b32_e64 v7, 0, 1, vcc_lo
	v_cmp_lt_i32_e32 vcc_lo, 5, v16
	v_lshl_or_b32 v7, v7, 9, 0x7c00
	s_or_b32 vcc_lo, s0, vcc_lo
	s_wait_alu 0xfffe
	v_add_co_ci_u32_e32 v11, vcc_lo, 0, v11, vcc_lo
	v_cmp_ne_u32_e32 vcc_lo, 0, v9
	s_wait_alu 0xfffd
	v_cndmask_b32_e64 v9, 0, 1, vcc_lo
	v_cmp_eq_u32_e32 vcc_lo, 0x40f, v20
	s_delay_alu instid0(VALU_DEP_2) | instskip(SKIP_4) | instid1(VALU_DEP_3)
	v_lshl_or_b32 v9, v9, 9, 0x7c00
	s_wait_alu 0xfffd
	v_cndmask_b32_e32 v7, v15, v7, vcc_lo
	v_cmp_gt_i32_e32 vcc_lo, 31, v19
	v_and_or_b32 v15, 0x8000, v5, v4
	v_and_or_b32 v7, 0x8000, v8, v7
	s_wait_alu 0xfffd
	v_cndmask_b32_e32 v11, 0x7c00, v11, vcc_lo
	v_cmp_eq_u32_e32 vcc_lo, 0x40f, v19
	s_wait_alu 0xfffd
	s_delay_alu instid0(VALU_DEP_2)
	v_cndmask_b32_e32 v8, v11, v9, vcc_lo
	v_lshrrev_b32_e32 v9, 16, v10
	v_add_co_u32 v4, vcc_lo, v12, s22
	s_wait_alu 0xfffd
	v_add_co_ci_u32_e32 v5, vcc_lo, s23, v13, vcc_lo
	v_lshl_or_b32 v10, v15, 16, v6
	v_and_or_b32 v8, 0x8000, v9, v8
	v_and_b32_e32 v9, 0xffff, v7
	v_add_co_u32 v6, vcc_lo, v4, s22
	s_wait_alu 0xfffd
	v_add_co_ci_u32_e32 v7, vcc_lo, s23, v5, vcc_lo
	s_delay_alu instid0(VALU_DEP_3) | instskip(NEXT) | instid1(VALU_DEP_3)
	v_lshl_or_b32 v11, v8, 16, v9
	v_add_co_u32 v8, vcc_lo, v6, s22
	s_wait_alu 0xfffd
	s_delay_alu instid0(VALU_DEP_3)
	v_add_co_ci_u32_e32 v9, vcc_lo, s23, v7, vcc_lo
	global_store_b32 v[2:3], v14, off
	global_store_b32 v[12:13], v21, off
	;; [unrolled: 1-line block ×5, first 2 shown]
	global_load_b32 v0, v27, s[20:21] offset:1056
	v_lshrrev_b32_e32 v2, 16, v1
	s_wait_loadcnt 0x0
	v_lshrrev_b32_e32 v3, 16, v0
	s_delay_alu instid0(VALU_DEP_1) | instskip(SKIP_1) | instid1(VALU_DEP_2)
	v_mul_f16_e32 v4, v2, v3
	v_mul_f16_e32 v3, v1, v3
	v_fmac_f16_e32 v4, v1, v0
	s_delay_alu instid0(VALU_DEP_2) | instskip(NEXT) | instid1(VALU_DEP_2)
	v_fma_f16 v0, v0, v2, -v3
	v_cvt_f32_f16_e32 v1, v4
	s_delay_alu instid0(VALU_DEP_2) | instskip(NEXT) | instid1(VALU_DEP_2)
	v_cvt_f32_f16_e32 v2, v0
	v_cvt_f64_f32_e32 v[0:1], v1
	s_delay_alu instid0(VALU_DEP_2) | instskip(NEXT) | instid1(VALU_DEP_2)
	v_cvt_f64_f32_e32 v[2:3], v2
	v_mul_f64_e32 v[0:1], s[24:25], v[0:1]
	s_delay_alu instid0(VALU_DEP_2) | instskip(NEXT) | instid1(VALU_DEP_2)
	v_mul_f64_e32 v[2:3], s[24:25], v[2:3]
	v_and_or_b32 v0, 0x1ff, v1, v0
	s_delay_alu instid0(VALU_DEP_2)
	v_and_or_b32 v2, 0x1ff, v3, v2
	v_lshrrev_b32_e32 v4, 8, v1
	v_bfe_u32 v5, v1, 20, 11
	v_lshrrev_b32_e32 v6, 8, v3
	v_cmp_ne_u32_e32 vcc_lo, 0, v0
	v_bfe_u32 v7, v3, 20, 11
	v_lshrrev_b32_e32 v1, 16, v1
	v_lshrrev_b32_e32 v3, 16, v3
	s_wait_alu 0xfffd
	v_cndmask_b32_e64 v0, 0, 1, vcc_lo
	v_cmp_ne_u32_e32 vcc_lo, 0, v2
	s_delay_alu instid0(VALU_DEP_2)
	v_and_or_b32 v0, 0xffe, v4, v0
	s_wait_alu 0xfffd
	v_cndmask_b32_e64 v2, 0, 1, vcc_lo
	v_sub_nc_u32_e32 v4, 0x3f1, v5
	v_add_nc_u32_e32 v5, 0xfffffc10, v5
	v_or_b32_e32 v10, 0x1000, v0
	s_delay_alu instid0(VALU_DEP_4) | instskip(SKIP_3) | instid1(VALU_DEP_4)
	v_and_or_b32 v2, 0xffe, v6, v2
	v_sub_nc_u32_e32 v6, 0x3f1, v7
	v_add_nc_u32_e32 v7, 0xfffffc10, v7
	v_med3_i32 v4, v4, 0, 13
	v_or_b32_e32 v11, 0x1000, v2
	s_delay_alu instid0(VALU_DEP_4) | instskip(NEXT) | instid1(VALU_DEP_3)
	v_med3_i32 v6, v6, 0, 13
	v_lshrrev_b32_e32 v12, v4, v10
	s_delay_alu instid0(VALU_DEP_2) | instskip(NEXT) | instid1(VALU_DEP_2)
	v_lshrrev_b32_e32 v13, v6, v11
	v_lshlrev_b32_e32 v4, v4, v12
	s_delay_alu instid0(VALU_DEP_2) | instskip(NEXT) | instid1(VALU_DEP_2)
	v_lshlrev_b32_e32 v6, v6, v13
	v_cmp_ne_u32_e32 vcc_lo, v4, v10
	v_lshl_or_b32 v10, v5, 12, v0
	s_wait_alu 0xfffd
	v_cndmask_b32_e64 v4, 0, 1, vcc_lo
	v_cmp_ne_u32_e32 vcc_lo, v6, v11
	v_lshl_or_b32 v11, v7, 12, v2
	s_delay_alu instid0(VALU_DEP_3) | instskip(SKIP_3) | instid1(VALU_DEP_2)
	v_or_b32_e32 v4, v12, v4
	s_wait_alu 0xfffd
	v_cndmask_b32_e64 v6, 0, 1, vcc_lo
	v_cmp_gt_i32_e32 vcc_lo, 1, v5
	v_or_b32_e32 v6, v13, v6
	s_wait_alu 0xfffd
	v_cndmask_b32_e32 v4, v10, v4, vcc_lo
	v_cmp_gt_i32_e32 vcc_lo, 1, v7
	s_wait_alu 0xfffd
	v_cndmask_b32_e32 v6, v11, v6, vcc_lo
	s_delay_alu instid0(VALU_DEP_1) | instskip(SKIP_3) | instid1(VALU_DEP_4)
	v_and_b32_e32 v11, 7, v6
	v_and_b32_e32 v10, 7, v4
	v_lshrrev_b32_e32 v4, 2, v4
	v_lshrrev_b32_e32 v6, 2, v6
	v_cmp_lt_i32_e64 s1, 5, v11
	s_delay_alu instid0(VALU_DEP_4) | instskip(SKIP_2) | instid1(VALU_DEP_2)
	v_cmp_lt_i32_e32 vcc_lo, 5, v10
	v_cmp_eq_u32_e64 s0, 3, v10
	v_cmp_eq_u32_e64 s2, 3, v11
	s_or_b32 vcc_lo, s0, vcc_lo
	s_wait_alu 0xfffe
	v_add_co_ci_u32_e32 v4, vcc_lo, 0, v4, vcc_lo
	v_cmp_ne_u32_e32 vcc_lo, 0, v0
	s_wait_alu 0xfffd
	v_cndmask_b32_e64 v0, 0, 1, vcc_lo
	s_or_b32 vcc_lo, s2, s1
	s_wait_alu 0xfffe
	v_add_co_ci_u32_e32 v6, vcc_lo, 0, v6, vcc_lo
	v_cmp_ne_u32_e32 vcc_lo, 0, v2
	v_lshl_or_b32 v0, v0, 9, 0x7c00
	s_wait_alu 0xfffd
	v_cndmask_b32_e64 v2, 0, 1, vcc_lo
	v_cmp_gt_i32_e32 vcc_lo, 31, v5
	s_delay_alu instid0(VALU_DEP_2)
	v_lshl_or_b32 v2, v2, 9, 0x7c00
	s_wait_alu 0xfffd
	v_cndmask_b32_e32 v4, 0x7c00, v4, vcc_lo
	v_cmp_gt_i32_e32 vcc_lo, 31, v7
	s_wait_alu 0xfffd
	v_cndmask_b32_e32 v6, 0x7c00, v6, vcc_lo
	v_cmp_eq_u32_e32 vcc_lo, 0x40f, v5
	s_wait_alu 0xfffd
	v_cndmask_b32_e32 v0, v4, v0, vcc_lo
	v_cmp_eq_u32_e32 vcc_lo, 0x40f, v7
	s_delay_alu instid0(VALU_DEP_2) | instskip(SKIP_2) | instid1(VALU_DEP_2)
	v_and_or_b32 v0, 0x8000, v1, v0
	s_wait_alu 0xfffd
	v_cndmask_b32_e32 v2, v6, v2, vcc_lo
	v_and_b32_e32 v0, 0xffff, v0
	s_delay_alu instid0(VALU_DEP_2) | instskip(NEXT) | instid1(VALU_DEP_1)
	v_and_or_b32 v1, 0x8000, v3, v2
	v_lshl_or_b32 v2, v1, 16, v0
	v_add_co_u32 v0, vcc_lo, v8, s22
	s_wait_alu 0xfffd
	v_add_co_ci_u32_e32 v1, vcc_lo, s23, v9, vcc_lo
	global_store_b32 v[0:1], v2, off
.LBB0_23:
	s_nop 0
	s_sendmsg sendmsg(MSG_DEALLOC_VGPRS)
	s_endpgm
	.section	.rodata,"a",@progbits
	.p2align	6, 0x0
	.amdhsa_kernel bluestein_single_fwd_len286_dim1_half_op_CI_CI
		.amdhsa_group_segment_fixed_size 2288
		.amdhsa_private_segment_fixed_size 0
		.amdhsa_kernarg_size 104
		.amdhsa_user_sgpr_count 2
		.amdhsa_user_sgpr_dispatch_ptr 0
		.amdhsa_user_sgpr_queue_ptr 0
		.amdhsa_user_sgpr_kernarg_segment_ptr 1
		.amdhsa_user_sgpr_dispatch_id 0
		.amdhsa_user_sgpr_private_segment_size 0
		.amdhsa_wavefront_size32 1
		.amdhsa_uses_dynamic_stack 0
		.amdhsa_enable_private_segment 0
		.amdhsa_system_sgpr_workgroup_id_x 1
		.amdhsa_system_sgpr_workgroup_id_y 0
		.amdhsa_system_sgpr_workgroup_id_z 0
		.amdhsa_system_sgpr_workgroup_info 0
		.amdhsa_system_vgpr_workitem_id 0
		.amdhsa_next_free_vgpr 175
		.amdhsa_next_free_sgpr 26
		.amdhsa_reserve_vcc 1
		.amdhsa_float_round_mode_32 0
		.amdhsa_float_round_mode_16_64 0
		.amdhsa_float_denorm_mode_32 3
		.amdhsa_float_denorm_mode_16_64 3
		.amdhsa_fp16_overflow 0
		.amdhsa_workgroup_processor_mode 1
		.amdhsa_memory_ordered 1
		.amdhsa_forward_progress 0
		.amdhsa_round_robin_scheduling 0
		.amdhsa_exception_fp_ieee_invalid_op 0
		.amdhsa_exception_fp_denorm_src 0
		.amdhsa_exception_fp_ieee_div_zero 0
		.amdhsa_exception_fp_ieee_overflow 0
		.amdhsa_exception_fp_ieee_underflow 0
		.amdhsa_exception_fp_ieee_inexact 0
		.amdhsa_exception_int_div_zero 0
	.end_amdhsa_kernel
	.text
.Lfunc_end0:
	.size	bluestein_single_fwd_len286_dim1_half_op_CI_CI, .Lfunc_end0-bluestein_single_fwd_len286_dim1_half_op_CI_CI
                                        ; -- End function
	.section	.AMDGPU.csdata,"",@progbits
; Kernel info:
; codeLenInByte = 24232
; NumSgprs: 28
; NumVgprs: 175
; ScratchSize: 0
; MemoryBound: 0
; FloatMode: 240
; IeeeMode: 1
; LDSByteSize: 2288 bytes/workgroup (compile time only)
; SGPRBlocks: 3
; VGPRBlocks: 21
; NumSGPRsForWavesPerEU: 28
; NumVGPRsForWavesPerEU: 175
; Occupancy: 8
; WaveLimiterHint : 1
; COMPUTE_PGM_RSRC2:SCRATCH_EN: 0
; COMPUTE_PGM_RSRC2:USER_SGPR: 2
; COMPUTE_PGM_RSRC2:TRAP_HANDLER: 0
; COMPUTE_PGM_RSRC2:TGID_X_EN: 1
; COMPUTE_PGM_RSRC2:TGID_Y_EN: 0
; COMPUTE_PGM_RSRC2:TGID_Z_EN: 0
; COMPUTE_PGM_RSRC2:TIDIG_COMP_CNT: 0
	.text
	.p2alignl 7, 3214868480
	.fill 96, 4, 3214868480
	.type	__hip_cuid_46996bd344c48e1a,@object ; @__hip_cuid_46996bd344c48e1a
	.section	.bss,"aw",@nobits
	.globl	__hip_cuid_46996bd344c48e1a
__hip_cuid_46996bd344c48e1a:
	.byte	0                               ; 0x0
	.size	__hip_cuid_46996bd344c48e1a, 1

	.ident	"AMD clang version 19.0.0git (https://github.com/RadeonOpenCompute/llvm-project roc-6.4.0 25133 c7fe45cf4b819c5991fe208aaa96edf142730f1d)"
	.section	".note.GNU-stack","",@progbits
	.addrsig
	.addrsig_sym __hip_cuid_46996bd344c48e1a
	.amdgpu_metadata
---
amdhsa.kernels:
  - .args:
      - .actual_access:  read_only
        .address_space:  global
        .offset:         0
        .size:           8
        .value_kind:     global_buffer
      - .actual_access:  read_only
        .address_space:  global
        .offset:         8
        .size:           8
        .value_kind:     global_buffer
      - .actual_access:  read_only
        .address_space:  global
        .offset:         16
        .size:           8
        .value_kind:     global_buffer
      - .actual_access:  read_only
        .address_space:  global
        .offset:         24
        .size:           8
        .value_kind:     global_buffer
      - .actual_access:  read_only
        .address_space:  global
        .offset:         32
        .size:           8
        .value_kind:     global_buffer
      - .offset:         40
        .size:           8
        .value_kind:     by_value
      - .address_space:  global
        .offset:         48
        .size:           8
        .value_kind:     global_buffer
      - .address_space:  global
        .offset:         56
        .size:           8
        .value_kind:     global_buffer
      - .address_space:  global
        .offset:         64
        .size:           8
        .value_kind:     global_buffer
      - .address_space:  global
        .offset:         72
        .size:           8
        .value_kind:     global_buffer
      - .offset:         80
        .size:           4
        .value_kind:     by_value
      - .address_space:  global
        .offset:         88
        .size:           8
        .value_kind:     global_buffer
      - .address_space:  global
        .offset:         96
        .size:           8
        .value_kind:     global_buffer
    .group_segment_fixed_size: 2288
    .kernarg_segment_align: 8
    .kernarg_segment_size: 104
    .language:       OpenCL C
    .language_version:
      - 2
      - 0
    .max_flat_workgroup_size: 52
    .name:           bluestein_single_fwd_len286_dim1_half_op_CI_CI
    .private_segment_fixed_size: 0
    .sgpr_count:     28
    .sgpr_spill_count: 0
    .symbol:         bluestein_single_fwd_len286_dim1_half_op_CI_CI.kd
    .uniform_work_group_size: 1
    .uses_dynamic_stack: false
    .vgpr_count:     175
    .vgpr_spill_count: 0
    .wavefront_size: 32
    .workgroup_processor_mode: 1
amdhsa.target:   amdgcn-amd-amdhsa--gfx1201
amdhsa.version:
  - 1
  - 2
...

	.end_amdgpu_metadata
